;; amdgpu-corpus repo=ROCm/rocFFT kind=compiled arch=gfx906 opt=O3
	.text
	.amdgcn_target "amdgcn-amd-amdhsa--gfx906"
	.amdhsa_code_object_version 6
	.protected	fft_rtc_fwd_len150_factors_10_5_3_wgs_60_tpt_5_halfLds_half_op_CI_CI_unitstride_sbrr_C2R_dirReg ; -- Begin function fft_rtc_fwd_len150_factors_10_5_3_wgs_60_tpt_5_halfLds_half_op_CI_CI_unitstride_sbrr_C2R_dirReg
	.globl	fft_rtc_fwd_len150_factors_10_5_3_wgs_60_tpt_5_halfLds_half_op_CI_CI_unitstride_sbrr_C2R_dirReg
	.p2align	8
	.type	fft_rtc_fwd_len150_factors_10_5_3_wgs_60_tpt_5_halfLds_half_op_CI_CI_unitstride_sbrr_C2R_dirReg,@function
fft_rtc_fwd_len150_factors_10_5_3_wgs_60_tpt_5_halfLds_half_op_CI_CI_unitstride_sbrr_C2R_dirReg: ; @fft_rtc_fwd_len150_factors_10_5_3_wgs_60_tpt_5_halfLds_half_op_CI_CI_unitstride_sbrr_C2R_dirReg
; %bb.0:
	v_mul_u32_u24_e32 v1, 0x3334, v0
	s_load_dwordx4 s[8:11], s[4:5], 0x58
	s_load_dwordx4 s[12:15], s[4:5], 0x0
	;; [unrolled: 1-line block ×3, first 2 shown]
	v_lshrrev_b32_e32 v1, 16, v1
	v_mad_u64_u32 v[9:10], s[0:1], s6, 12, v[1:2]
	v_mov_b32_e32 v6, 0
	s_waitcnt lgkmcnt(0)
	v_cmp_lt_u64_e64 s[0:1], s[14:15], 2
	v_mov_b32_e32 v4, 0
	v_mov_b32_e32 v10, v6
	;; [unrolled: 1-line block ×5, first 2 shown]
	s_and_b64 vcc, exec, s[0:1]
	v_mov_b32_e32 v2, v5
	v_mov_b32_e32 v8, v10
	s_cbranch_vccnz .LBB0_8
; %bb.1:
	s_load_dwordx2 s[0:1], s[4:5], 0x10
	s_add_u32 s2, s18, 8
	s_addc_u32 s3, s19, 0
	s_add_u32 s6, s16, 8
	s_addc_u32 s7, s17, 0
	v_mov_b32_e32 v4, 0
	s_waitcnt lgkmcnt(0)
	s_add_u32 s20, s0, 8
	v_mov_b32_e32 v5, 0
	v_mov_b32_e32 v1, v4
	;; [unrolled: 1-line block ×3, first 2 shown]
	s_addc_u32 s21, s1, 0
	s_mov_b64 s[22:23], 1
	v_mov_b32_e32 v2, v5
	v_mov_b32_e32 v10, v9
.LBB0_2:                                ; =>This Inner Loop Header: Depth=1
	s_load_dwordx2 s[24:25], s[20:21], 0x0
	s_waitcnt lgkmcnt(0)
	v_or_b32_e32 v7, s25, v11
	v_cmp_ne_u64_e32 vcc, 0, v[6:7]
                                        ; implicit-def: $vgpr7_vgpr8
	s_and_saveexec_b64 s[0:1], vcc
	s_xor_b64 s[26:27], exec, s[0:1]
	s_cbranch_execz .LBB0_4
; %bb.3:                                ;   in Loop: Header=BB0_2 Depth=1
	v_cvt_f32_u32_e32 v3, s24
	v_cvt_f32_u32_e32 v7, s25
	s_sub_u32 s0, 0, s24
	s_subb_u32 s1, 0, s25
	v_mac_f32_e32 v3, 0x4f800000, v7
	v_rcp_f32_e32 v3, v3
	v_mul_f32_e32 v3, 0x5f7ffffc, v3
	v_mul_f32_e32 v7, 0x2f800000, v3
	v_trunc_f32_e32 v7, v7
	v_mac_f32_e32 v3, 0xcf800000, v7
	v_cvt_u32_f32_e32 v7, v7
	v_cvt_u32_f32_e32 v3, v3
	v_mul_lo_u32 v8, s0, v7
	v_mul_hi_u32 v12, s0, v3
	v_mul_lo_u32 v14, s1, v3
	v_mul_lo_u32 v13, s0, v3
	v_add_u32_e32 v8, v12, v8
	v_add_u32_e32 v8, v8, v14
	v_mul_hi_u32 v12, v3, v13
	v_mul_lo_u32 v14, v3, v8
	v_mul_hi_u32 v16, v3, v8
	v_mul_hi_u32 v15, v7, v13
	v_mul_lo_u32 v13, v7, v13
	v_mul_hi_u32 v17, v7, v8
	v_add_co_u32_e32 v12, vcc, v12, v14
	v_addc_co_u32_e32 v14, vcc, 0, v16, vcc
	v_mul_lo_u32 v8, v7, v8
	v_add_co_u32_e32 v12, vcc, v12, v13
	v_addc_co_u32_e32 v12, vcc, v14, v15, vcc
	v_addc_co_u32_e32 v13, vcc, 0, v17, vcc
	v_add_co_u32_e32 v8, vcc, v12, v8
	v_addc_co_u32_e32 v12, vcc, 0, v13, vcc
	v_add_co_u32_e32 v3, vcc, v3, v8
	v_addc_co_u32_e32 v7, vcc, v7, v12, vcc
	v_mul_lo_u32 v8, s0, v7
	v_mul_hi_u32 v12, s0, v3
	v_mul_lo_u32 v13, s1, v3
	v_mul_lo_u32 v14, s0, v3
	v_add_u32_e32 v8, v12, v8
	v_add_u32_e32 v8, v8, v13
	v_mul_lo_u32 v15, v3, v8
	v_mul_hi_u32 v16, v3, v14
	v_mul_hi_u32 v17, v3, v8
	;; [unrolled: 1-line block ×3, first 2 shown]
	v_mul_lo_u32 v14, v7, v14
	v_mul_hi_u32 v12, v7, v8
	v_add_co_u32_e32 v15, vcc, v16, v15
	v_addc_co_u32_e32 v16, vcc, 0, v17, vcc
	v_mul_lo_u32 v8, v7, v8
	v_add_co_u32_e32 v14, vcc, v15, v14
	v_addc_co_u32_e32 v13, vcc, v16, v13, vcc
	v_addc_co_u32_e32 v12, vcc, 0, v12, vcc
	v_add_co_u32_e32 v8, vcc, v13, v8
	v_addc_co_u32_e32 v12, vcc, 0, v12, vcc
	v_add_co_u32_e32 v3, vcc, v3, v8
	v_addc_co_u32_e32 v12, vcc, v7, v12, vcc
	v_mad_u64_u32 v[7:8], s[0:1], v10, v12, 0
	v_mul_hi_u32 v13, v10, v3
	v_add_co_u32_e32 v14, vcc, v13, v7
	v_addc_co_u32_e32 v15, vcc, 0, v8, vcc
	v_mad_u64_u32 v[7:8], s[0:1], v11, v3, 0
	v_mad_u64_u32 v[12:13], s[0:1], v11, v12, 0
	v_add_co_u32_e32 v3, vcc, v14, v7
	v_addc_co_u32_e32 v3, vcc, v15, v8, vcc
	v_addc_co_u32_e32 v7, vcc, 0, v13, vcc
	v_add_co_u32_e32 v3, vcc, v3, v12
	v_addc_co_u32_e32 v12, vcc, 0, v7, vcc
	v_mul_lo_u32 v13, s25, v3
	v_mul_lo_u32 v14, s24, v12
	v_mad_u64_u32 v[7:8], s[0:1], s24, v3, 0
	v_add3_u32 v8, v8, v14, v13
	v_sub_u32_e32 v13, v11, v8
	v_mov_b32_e32 v14, s25
	v_sub_co_u32_e32 v7, vcc, v10, v7
	v_subb_co_u32_e64 v13, s[0:1], v13, v14, vcc
	v_subrev_co_u32_e64 v14, s[0:1], s24, v7
	v_subbrev_co_u32_e64 v13, s[0:1], 0, v13, s[0:1]
	v_cmp_le_u32_e64 s[0:1], s25, v13
	v_cndmask_b32_e64 v15, 0, -1, s[0:1]
	v_cmp_le_u32_e64 s[0:1], s24, v14
	v_cndmask_b32_e64 v14, 0, -1, s[0:1]
	v_cmp_eq_u32_e64 s[0:1], s25, v13
	v_cndmask_b32_e64 v13, v15, v14, s[0:1]
	v_add_co_u32_e64 v14, s[0:1], 2, v3
	v_addc_co_u32_e64 v15, s[0:1], 0, v12, s[0:1]
	v_add_co_u32_e64 v16, s[0:1], 1, v3
	v_addc_co_u32_e64 v17, s[0:1], 0, v12, s[0:1]
	v_subb_co_u32_e32 v8, vcc, v11, v8, vcc
	v_cmp_ne_u32_e64 s[0:1], 0, v13
	v_cmp_le_u32_e32 vcc, s25, v8
	v_cndmask_b32_e64 v13, v17, v15, s[0:1]
	v_cndmask_b32_e64 v15, 0, -1, vcc
	v_cmp_le_u32_e32 vcc, s24, v7
	v_cndmask_b32_e64 v7, 0, -1, vcc
	v_cmp_eq_u32_e32 vcc, s25, v8
	v_cndmask_b32_e32 v7, v15, v7, vcc
	v_cmp_ne_u32_e32 vcc, 0, v7
	v_cndmask_b32_e64 v7, v16, v14, s[0:1]
	v_cndmask_b32_e32 v8, v12, v13, vcc
	v_cndmask_b32_e32 v7, v3, v7, vcc
.LBB0_4:                                ;   in Loop: Header=BB0_2 Depth=1
	s_andn2_saveexec_b64 s[0:1], s[26:27]
	s_cbranch_execz .LBB0_6
; %bb.5:                                ;   in Loop: Header=BB0_2 Depth=1
	v_cvt_f32_u32_e32 v3, s24
	s_sub_i32 s26, 0, s24
	v_rcp_iflag_f32_e32 v3, v3
	v_mul_f32_e32 v3, 0x4f7ffffe, v3
	v_cvt_u32_f32_e32 v3, v3
	v_mul_lo_u32 v7, s26, v3
	v_mul_hi_u32 v7, v3, v7
	v_add_u32_e32 v3, v3, v7
	v_mul_hi_u32 v3, v10, v3
	v_mul_lo_u32 v7, v3, s24
	v_add_u32_e32 v8, 1, v3
	v_sub_u32_e32 v7, v10, v7
	v_subrev_u32_e32 v12, s24, v7
	v_cmp_le_u32_e32 vcc, s24, v7
	v_cndmask_b32_e32 v7, v7, v12, vcc
	v_cndmask_b32_e32 v3, v3, v8, vcc
	v_add_u32_e32 v8, 1, v3
	v_cmp_le_u32_e32 vcc, s24, v7
	v_cndmask_b32_e32 v7, v3, v8, vcc
	v_mov_b32_e32 v8, v6
.LBB0_6:                                ;   in Loop: Header=BB0_2 Depth=1
	s_or_b64 exec, exec, s[0:1]
	v_mul_lo_u32 v3, v8, s24
	v_mul_lo_u32 v14, v7, s25
	v_mad_u64_u32 v[12:13], s[0:1], v7, s24, 0
	s_load_dwordx2 s[0:1], s[6:7], 0x0
	s_load_dwordx2 s[24:25], s[2:3], 0x0
	v_add3_u32 v3, v13, v14, v3
	v_sub_co_u32_e32 v10, vcc, v10, v12
	v_subb_co_u32_e32 v3, vcc, v11, v3, vcc
	s_waitcnt lgkmcnt(0)
	v_mul_lo_u32 v11, s0, v3
	v_mul_lo_u32 v12, s1, v10
	v_mad_u64_u32 v[4:5], s[0:1], s0, v10, v[4:5]
	s_add_u32 s22, s22, 1
	s_addc_u32 s23, s23, 0
	s_add_u32 s2, s2, 8
	v_mul_lo_u32 v3, s24, v3
	v_mul_lo_u32 v13, s25, v10
	v_mad_u64_u32 v[1:2], s[0:1], s24, v10, v[1:2]
	v_add3_u32 v5, v12, v5, v11
	s_addc_u32 s3, s3, 0
	v_mov_b32_e32 v10, s14
	s_add_u32 s6, s6, 8
	v_mov_b32_e32 v11, s15
	s_addc_u32 s7, s7, 0
	v_cmp_ge_u64_e32 vcc, s[22:23], v[10:11]
	s_add_u32 s20, s20, 8
	v_add3_u32 v2, v13, v2, v3
	s_addc_u32 s21, s21, 0
	s_cbranch_vccnz .LBB0_8
; %bb.7:                                ;   in Loop: Header=BB0_2 Depth=1
	v_mov_b32_e32 v11, v8
	v_mov_b32_e32 v10, v7
	s_branch .LBB0_2
.LBB0_8:
	s_mov_b32 s0, 0xaaaaaaab
	v_mul_hi_u32 v3, v9, s0
	s_load_dwordx2 s[0:1], s[4:5], 0x28
	s_lshl_b64 s[6:7], s[14:15], 3
	s_add_u32 s2, s18, s6
	v_lshrrev_b32_e32 v3, 3, v3
	v_mul_lo_u32 v3, v3, 12
	s_waitcnt lgkmcnt(0)
	v_cmp_gt_u64_e32 vcc, s[0:1], v[7:8]
	v_cmp_le_u64_e64 s[0:1], s[0:1], v[7:8]
	s_addc_u32 s3, s19, s7
	v_sub_u32_e32 v6, v9, v3
                                        ; implicit-def: $vgpr3
	s_and_saveexec_b64 s[4:5], s[0:1]
	s_xor_b64 s[0:1], exec, s[4:5]
; %bb.9:
	s_mov_b32 s4, 0x33333334
	v_mul_hi_u32 v3, v0, s4
                                        ; implicit-def: $vgpr4_vgpr5
	v_mul_u32_u24_e32 v3, 5, v3
	v_sub_u32_e32 v3, v0, v3
                                        ; implicit-def: $vgpr0
; %bb.10:
	s_or_saveexec_b64 s[4:5], s[0:1]
	s_load_dwordx2 s[2:3], s[2:3], 0x0
	v_mul_u32_u24_e32 v6, 0x97, v6
	v_lshlrev_b32_e32 v25, 2, v6
	s_xor_b64 exec, exec, s[4:5]
	s_cbranch_execz .LBB0_14
; %bb.11:
	s_add_u32 s0, s16, s6
	s_addc_u32 s1, s17, s7
	s_load_dwordx2 s[0:1], s[0:1], 0x0
	s_mov_b32 s6, 0x33333334
	v_mul_hi_u32 v3, v0, s6
	v_lshlrev_b64 v[4:5], 2, v[4:5]
	s_waitcnt lgkmcnt(0)
	v_mul_lo_u32 v11, s1, v7
	v_mul_lo_u32 v12, s0, v8
	v_mad_u64_u32 v[9:10], s[0:1], s0, v7, 0
	v_mul_u32_u24_e32 v3, 5, v3
	v_sub_u32_e32 v3, v0, v3
	v_add3_u32 v10, v10, v12, v11
	v_lshlrev_b64 v[9:10], 2, v[9:10]
	v_mov_b32_e32 v0, s9
	v_add_co_u32_e64 v9, s[0:1], s8, v9
	v_addc_co_u32_e64 v0, s[0:1], v0, v10, s[0:1]
	v_add_co_u32_e64 v4, s[0:1], v9, v4
	v_addc_co_u32_e64 v5, s[0:1], v0, v5, s[0:1]
	v_lshlrev_b32_e32 v0, 2, v3
	v_add_co_u32_e64 v9, s[0:1], v4, v0
	v_addc_co_u32_e64 v10, s[0:1], 0, v5, s[0:1]
	global_load_dword v11, v[9:10], off
	global_load_dword v12, v[9:10], off offset:20
	global_load_dword v13, v[9:10], off offset:40
	;; [unrolled: 1-line block ×29, first 2 shown]
	v_add3_u32 v0, 0, v25, v0
	v_cmp_eq_u32_e64 s[0:1], 4, v3
	s_waitcnt vmcnt(28)
	ds_write2_b32 v0, v11, v12 offset1:5
	s_waitcnt vmcnt(26)
	ds_write2_b32 v0, v13, v14 offset0:10 offset1:15
	s_waitcnt vmcnt(24)
	ds_write2_b32 v0, v15, v16 offset0:20 offset1:25
	;; [unrolled: 2-line block ×14, first 2 shown]
	s_and_saveexec_b64 s[6:7], s[0:1]
	s_cbranch_execz .LBB0_13
; %bb.12:
	global_load_dword v3, v[4:5], off offset:600
	s_waitcnt vmcnt(0)
	ds_write_b32 v0, v3 offset:584
	v_mov_b32_e32 v3, 4
.LBB0_13:
	s_or_b64 exec, exec, s[6:7]
.LBB0_14:
	s_or_b64 exec, exec, s[4:5]
	v_lshl_add_u32 v0, v6, 2, 0
	v_lshlrev_b32_e32 v5, 2, v3
	v_add_u32_e32 v26, v0, v5
	s_waitcnt lgkmcnt(0)
	; wave barrier
	s_waitcnt lgkmcnt(0)
	v_sub_u32_e32 v6, v0, v5
	ds_read_u16 v13, v26
	ds_read_u16 v14, v6 offset:600
	v_cmp_ne_u32_e64 s[0:1], 0, v3
                                        ; implicit-def: $vgpr9_vgpr10
	s_waitcnt lgkmcnt(0)
	v_add_f16_e32 v11, v14, v13
	v_sub_f16_e32 v12, v13, v14
	s_and_saveexec_b64 s[4:5], s[0:1]
	s_xor_b64 s[4:5], exec, s[4:5]
	s_cbranch_execz .LBB0_16
; %bb.15:
	v_mov_b32_e32 v4, 0
	v_lshlrev_b64 v[9:10], 2, v[3:4]
	v_mov_b32_e32 v11, s13
	v_add_co_u32_e64 v9, s[0:1], s12, v9
	v_addc_co_u32_e64 v10, s[0:1], v11, v10, s[0:1]
	global_load_dword v9, v[9:10], off offset:560
	ds_read_u16 v10, v6 offset:602
	ds_read_u16 v11, v26 offset:2
	v_add_f16_e32 v12, v14, v13
	v_sub_f16_e32 v13, v13, v14
	s_waitcnt lgkmcnt(0)
	v_add_f16_e32 v14, v10, v11
	v_sub_f16_e32 v10, v11, v10
	s_waitcnt vmcnt(0)
	v_lshrrev_b32_e32 v11, 16, v9
	v_fma_f16 v15, v13, v11, v12
	v_fma_f16 v16, v14, v11, v10
	v_fma_f16 v17, -v13, v11, v12
	v_fma_f16 v10, v14, v11, -v10
	v_fma_f16 v11, -v9, v14, v15
	v_fma_f16 v12, v13, v9, v16
	v_fma_f16 v14, v9, v14, v17
	;; [unrolled: 1-line block ×3, first 2 shown]
	v_pack_b32_f16 v9, v14, v9
	ds_write_b32 v6, v9 offset:600
	v_mov_b32_e32 v10, v4
	v_mov_b32_e32 v9, v3
.LBB0_16:
	s_andn2_saveexec_b64 s[0:1], s[4:5]
	s_cbranch_execz .LBB0_18
; %bb.17:
	ds_read_b32 v4, v0 offset:300
	s_mov_b32 s4, 0xc0004000
	v_mov_b32_e32 v9, 0
	v_mov_b32_e32 v10, 0
	s_waitcnt lgkmcnt(0)
	v_pk_mul_f16 v4, v4, s4
	ds_write_b32 v0, v4 offset:300
.LBB0_18:
	s_or_b64 exec, exec, s[0:1]
	s_add_u32 s0, s12, 0x230
	v_lshlrev_b64 v[9:10], 2, v[9:10]
	s_addc_u32 s1, s13, 0
	v_mov_b32_e32 v4, s1
	v_add_co_u32_e64 v9, s[0:1], s0, v9
	v_addc_co_u32_e64 v10, s[0:1], v4, v10, s[0:1]
	global_load_dword v4, v[9:10], off offset:20
	global_load_dword v13, v[9:10], off offset:40
	global_load_dword v14, v[9:10], off offset:60
	global_load_dword v15, v[9:10], off offset:80
	s_mov_b32 s0, 0x5040100
	v_perm_b32 v11, v12, v11, s0
	ds_write_b32 v26, v11
	ds_read_b32 v16, v26 offset:20
	ds_read_b32 v17, v6 offset:580
	global_load_dword v18, v[9:10], off offset:100
	global_load_dword v12, v[9:10], off offset:120
	;; [unrolled: 1-line block ×4, first 2 shown]
	v_add3_u32 v33, 0, v5, v25
	s_movk_i32 s5, 0x3b9c
	s_mov_b32 s7, 0xbb9c
	s_waitcnt lgkmcnt(0)
	v_add_f16_e32 v20, v16, v17
	v_add_f16_sdwa v21, v17, v16 dst_sel:DWORD dst_unused:UNUSED_PAD src0_sel:WORD_1 src1_sel:WORD_1
	v_sub_f16_e32 v22, v16, v17
	v_sub_f16_sdwa v16, v16, v17 dst_sel:DWORD dst_unused:UNUSED_PAD src0_sel:WORD_1 src1_sel:WORD_1
	s_movk_i32 s4, 0x38b4
	s_mov_b32 s8, 0xb8b4
	s_movk_i32 s6, 0x34f2
	s_movk_i32 s0, 0x3a79
	v_add_u32_e32 v34, 20, v3
	s_movk_i32 s9, 0xcd
	s_waitcnt vmcnt(7)
	v_lshrrev_b32_e32 v17, 16, v4
	v_fma_f16 v23, v22, v17, v20
	v_fma_f16 v24, v21, v17, v16
	v_fma_f16 v20, -v22, v17, v20
	v_fma_f16 v16, v21, v17, -v16
	v_fma_f16 v17, -v4, v21, v23
	v_fma_f16 v23, v22, v4, v24
	v_fma_f16 v20, v4, v21, v20
	v_fma_f16 v4, v22, v4, v16
	v_pack_b32_f16 v16, v17, v23
	v_pack_b32_f16 v4, v20, v4
	ds_write_b32 v26, v16 offset:20
	ds_write_b32 v6, v4 offset:580
	ds_read_b32 v4, v26 offset:40
	ds_read_b32 v16, v6 offset:560
	s_waitcnt vmcnt(6)
	v_lshrrev_b32_e32 v17, 16, v13
	s_waitcnt lgkmcnt(0)
	v_add_f16_e32 v20, v4, v16
	v_add_f16_sdwa v21, v16, v4 dst_sel:DWORD dst_unused:UNUSED_PAD src0_sel:WORD_1 src1_sel:WORD_1
	v_sub_f16_e32 v22, v4, v16
	v_sub_f16_sdwa v4, v4, v16 dst_sel:DWORD dst_unused:UNUSED_PAD src0_sel:WORD_1 src1_sel:WORD_1
	v_fma_f16 v16, v22, v17, v20
	v_fma_f16 v23, v21, v17, v4
	v_fma_f16 v20, -v22, v17, v20
	v_fma_f16 v4, v21, v17, -v4
	v_fma_f16 v16, -v13, v21, v16
	v_fma_f16 v17, v22, v13, v23
	v_fma_f16 v20, v13, v21, v20
	v_fma_f16 v4, v22, v13, v4
	v_pack_b32_f16 v13, v16, v17
	v_pack_b32_f16 v4, v20, v4
	ds_write_b32 v26, v13 offset:40
	ds_write_b32 v6, v4 offset:560
	ds_read_b32 v4, v26 offset:60
	ds_read_b32 v13, v6 offset:540
	s_waitcnt vmcnt(5)
	v_lshrrev_b32_e32 v16, 16, v14
	s_waitcnt lgkmcnt(0)
	v_add_f16_e32 v17, v4, v13
	v_add_f16_sdwa v20, v13, v4 dst_sel:DWORD dst_unused:UNUSED_PAD src0_sel:WORD_1 src1_sel:WORD_1
	v_sub_f16_e32 v21, v4, v13
	v_sub_f16_sdwa v4, v4, v13 dst_sel:DWORD dst_unused:UNUSED_PAD src0_sel:WORD_1 src1_sel:WORD_1
	;; [unrolled: 21-line block ×3, first 2 shown]
	v_fma_f16 v13, v20, v14, v16
	v_fma_f16 v21, v17, v14, v4
	v_fma_f16 v16, -v20, v14, v16
	v_fma_f16 v4, v17, v14, -v4
	v_fma_f16 v13, -v15, v17, v13
	v_fma_f16 v14, v20, v15, v21
	v_fma_f16 v16, v15, v17, v16
	;; [unrolled: 1-line block ×3, first 2 shown]
	v_pack_b32_f16 v13, v13, v14
	v_pack_b32_f16 v4, v16, v4
	ds_write_b32 v26, v13 offset:80
	ds_write_b32 v6, v4 offset:520
	ds_read_b32 v13, v26 offset:100
	ds_read_b32 v14, v6 offset:500
	s_waitcnt vmcnt(3)
	v_lshrrev_b32_e32 v15, 16, v18
	global_load_dword v4, v[9:10], off offset:180
	s_waitcnt lgkmcnt(0)
	v_add_f16_e32 v16, v13, v14
	v_add_f16_sdwa v17, v14, v13 dst_sel:DWORD dst_unused:UNUSED_PAD src0_sel:WORD_1 src1_sel:WORD_1
	v_sub_f16_e32 v20, v13, v14
	v_sub_f16_sdwa v13, v13, v14 dst_sel:DWORD dst_unused:UNUSED_PAD src0_sel:WORD_1 src1_sel:WORD_1
	v_fma_f16 v14, v20, v15, v16
	v_fma_f16 v21, v17, v15, v13
	v_fma_f16 v16, -v20, v15, v16
	v_fma_f16 v13, v17, v15, -v13
	v_fma_f16 v14, -v18, v17, v14
	v_fma_f16 v15, v20, v18, v21
	v_fma_f16 v16, v18, v17, v16
	;; [unrolled: 1-line block ×3, first 2 shown]
	v_pack_b32_f16 v14, v14, v15
	v_pack_b32_f16 v13, v16, v13
	ds_write_b32 v26, v14 offset:100
	ds_write_b32 v6, v13 offset:500
	ds_read_b32 v13, v26 offset:120
	ds_read_b32 v14, v6 offset:480
	s_waitcnt vmcnt(3)
	v_lshrrev_b32_e32 v16, 16, v12
	global_load_dword v15, v[9:10], off offset:200
	s_waitcnt lgkmcnt(0)
	v_add_f16_e32 v17, v13, v14
	v_add_f16_sdwa v18, v14, v13 dst_sel:DWORD dst_unused:UNUSED_PAD src0_sel:WORD_1 src1_sel:WORD_1
	v_sub_f16_e32 v20, v13, v14
	v_sub_f16_sdwa v13, v13, v14 dst_sel:DWORD dst_unused:UNUSED_PAD src0_sel:WORD_1 src1_sel:WORD_1
	v_fma_f16 v14, v20, v16, v17
	v_fma_f16 v21, v18, v16, v13
	v_fma_f16 v17, -v20, v16, v17
	v_fma_f16 v13, v18, v16, -v13
	v_fma_f16 v14, -v12, v18, v14
	v_fma_f16 v16, v20, v12, v21
	v_fma_f16 v17, v12, v18, v17
	;; [unrolled: 1-line block ×3, first 2 shown]
	v_pack_b32_f16 v13, v14, v16
	v_pack_b32_f16 v12, v17, v12
	ds_write_b32 v26, v13 offset:120
	ds_write_b32 v6, v12 offset:480
	ds_read_b32 v12, v26 offset:140
	ds_read_b32 v13, v6 offset:460
	s_waitcnt vmcnt(3)
	v_lshrrev_b32_e32 v14, 16, v19
	s_waitcnt lgkmcnt(0)
	v_add_f16_e32 v16, v12, v13
	v_add_f16_sdwa v17, v13, v12 dst_sel:DWORD dst_unused:UNUSED_PAD src0_sel:WORD_1 src1_sel:WORD_1
	v_sub_f16_e32 v18, v12, v13
	v_sub_f16_sdwa v12, v12, v13 dst_sel:DWORD dst_unused:UNUSED_PAD src0_sel:WORD_1 src1_sel:WORD_1
	v_fma_f16 v13, v18, v14, v16
	v_fma_f16 v20, v17, v14, v12
	v_fma_f16 v13, -v19, v17, v13
	v_fma_f16 v20, v18, v19, v20
	v_fma_f16 v16, -v18, v14, v16
	v_pack_b32_f16 v13, v13, v20
	v_fma_f16 v12, v17, v14, -v12
	ds_write_b32 v26, v13 offset:140
	v_fma_f16 v13, v19, v17, v16
	v_fma_f16 v12, v18, v19, v12
	v_pack_b32_f16 v12, v13, v12
	ds_write_b32 v6, v12 offset:460
	ds_read_b32 v12, v26 offset:160
	ds_read_b32 v13, v6 offset:440
	global_load_dword v14, v[9:10], off offset:220
	s_waitcnt lgkmcnt(0)
	v_add_f16_e32 v16, v12, v13
	v_add_f16_sdwa v17, v13, v12 dst_sel:DWORD dst_unused:UNUSED_PAD src0_sel:WORD_1 src1_sel:WORD_1
	v_sub_f16_e32 v18, v12, v13
	v_sub_f16_sdwa v12, v12, v13 dst_sel:DWORD dst_unused:UNUSED_PAD src0_sel:WORD_1 src1_sel:WORD_1
	s_waitcnt vmcnt(3)
	v_lshrrev_b32_e32 v13, 16, v11
	v_fma_f16 v19, v18, v13, v16
	v_fma_f16 v20, v17, v13, v12
	v_fma_f16 v16, -v18, v13, v16
	v_fma_f16 v12, v17, v13, -v12
	v_fma_f16 v19, -v11, v17, v19
	v_fma_f16 v20, v18, v11, v20
	v_fma_f16 v16, v11, v17, v16
	;; [unrolled: 1-line block ×3, first 2 shown]
	v_pack_b32_f16 v19, v19, v20
	v_pack_b32_f16 v11, v16, v11
	ds_write_b32 v26, v19 offset:160
	ds_write_b32 v6, v11 offset:440
	ds_read_b32 v11, v26 offset:180
	ds_read_b32 v12, v6 offset:420
	global_load_dword v13, v[9:10], off offset:240
	s_waitcnt lgkmcnt(0)
	v_add_f16_e32 v16, v11, v12
	v_add_f16_sdwa v17, v12, v11 dst_sel:DWORD dst_unused:UNUSED_PAD src0_sel:WORD_1 src1_sel:WORD_1
	v_sub_f16_e32 v18, v11, v12
	v_sub_f16_sdwa v11, v11, v12 dst_sel:DWORD dst_unused:UNUSED_PAD src0_sel:WORD_1 src1_sel:WORD_1
	global_load_dword v12, v[9:10], off offset:260
	global_load_dword v19, v[9:10], off offset:280
	s_waitcnt vmcnt(5)
	v_lshrrev_b32_e32 v9, 16, v4
	v_fma_f16 v10, v18, v9, v16
	v_fma_f16 v20, v17, v9, v11
	v_fma_f16 v10, -v4, v17, v10
	v_fma_f16 v20, v18, v4, v20
	v_pack_b32_f16 v10, v10, v20
	ds_write_b32 v26, v10 offset:180
	v_fma_f16 v10, -v18, v9, v16
	v_fma_f16 v9, v17, v9, -v11
	v_fma_f16 v10, v4, v17, v10
	v_fma_f16 v4, v18, v4, v9
	v_pack_b32_f16 v4, v10, v4
	ds_write_b32 v6, v4 offset:420
	ds_read_b32 v4, v26 offset:200
	ds_read_b32 v9, v6 offset:400
	s_waitcnt lgkmcnt(0)
	v_add_f16_e32 v10, v4, v9
	v_add_f16_sdwa v11, v9, v4 dst_sel:DWORD dst_unused:UNUSED_PAD src0_sel:WORD_1 src1_sel:WORD_1
	v_sub_f16_e32 v16, v4, v9
	v_sub_f16_sdwa v4, v4, v9 dst_sel:DWORD dst_unused:UNUSED_PAD src0_sel:WORD_1 src1_sel:WORD_1
	s_waitcnt vmcnt(4)
	v_lshrrev_b32_e32 v9, 16, v15
	v_fma_f16 v17, v16, v9, v10
	v_fma_f16 v18, v11, v9, v4
	v_fma_f16 v10, -v16, v9, v10
	v_fma_f16 v4, v11, v9, -v4
	v_fma_f16 v17, -v15, v11, v17
	v_fma_f16 v18, v16, v15, v18
	v_fma_f16 v10, v15, v11, v10
	v_fma_f16 v4, v16, v15, v4
	v_pack_b32_f16 v17, v17, v18
	v_pack_b32_f16 v4, v10, v4
	ds_write_b32 v26, v17 offset:200
	ds_write_b32 v6, v4 offset:400
	ds_read_b32 v4, v26 offset:220
	ds_read_b32 v9, v6 offset:380
	s_waitcnt lgkmcnt(0)
	v_add_f16_e32 v10, v4, v9
	v_add_f16_sdwa v11, v9, v4 dst_sel:DWORD dst_unused:UNUSED_PAD src0_sel:WORD_1 src1_sel:WORD_1
	v_sub_f16_e32 v15, v4, v9
	v_sub_f16_sdwa v4, v4, v9 dst_sel:DWORD dst_unused:UNUSED_PAD src0_sel:WORD_1 src1_sel:WORD_1
	s_waitcnt vmcnt(3)
	v_lshrrev_b32_e32 v9, 16, v14
	v_fma_f16 v16, v15, v9, v10
	v_fma_f16 v17, v11, v9, v4
	v_fma_f16 v10, -v15, v9, v10
	v_fma_f16 v4, v11, v9, -v4
	v_fma_f16 v16, -v14, v11, v16
	v_fma_f16 v17, v15, v14, v17
	v_fma_f16 v10, v14, v11, v10
	v_fma_f16 v4, v15, v14, v4
	v_pack_b32_f16 v16, v16, v17
	v_pack_b32_f16 v4, v10, v4
	ds_write_b32 v26, v16 offset:220
	;; [unrolled: 21-line block ×5, first 2 shown]
	ds_write_b32 v6, v4 offset:320
	s_waitcnt lgkmcnt(0)
	; wave barrier
	s_waitcnt lgkmcnt(0)
	s_waitcnt lgkmcnt(0)
	; wave barrier
	s_waitcnt lgkmcnt(0)
	ds_read2_b32 v[11:12], v33 offset0:25 offset1:30
	ds_read2_b32 v[17:18], v33 offset0:45 offset1:50
	;; [unrolled: 1-line block ×6, first 2 shown]
	ds_read_b32 v6, v26
	ds_read2_b32 v[15:16], v33 offset0:115 offset1:120
	ds_read2_b32 v[23:24], v33 offset0:135 offset1:140
	s_waitcnt lgkmcnt(4)
	v_add_f16_e32 v27, v10, v14
	v_sub_f16_sdwa v30, v10, v14 dst_sel:DWORD dst_unused:UNUSED_PAD src0_sel:WORD_1 src1_sel:WORD_1
	s_waitcnt lgkmcnt(2)
	v_fma_f16 v27, v27, -0.5, v6
	s_waitcnt lgkmcnt(1)
	v_sub_f16_sdwa v28, v12, v16 dst_sel:DWORD dst_unused:UNUSED_PAD src0_sel:WORD_1 src1_sel:WORD_1
	v_fma_f16 v29, v28, s5, v27
	v_sub_f16_e32 v31, v16, v14
	v_sub_f16_e32 v32, v12, v10
	v_fma_f16 v27, v28, s7, v27
	v_fma_f16 v29, v30, s4, v29
	v_add_f16_e32 v31, v32, v31
	v_fma_f16 v27, v30, s8, v27
	v_fma_f16 v29, v31, s6, v29
	;; [unrolled: 1-line block ×3, first 2 shown]
	v_add_f16_e32 v27, v12, v16
	v_fma_f16 v27, v27, -0.5, v6
	v_fma_f16 v32, v30, s7, v27
	v_sub_f16_e32 v35, v14, v16
	v_sub_f16_e32 v36, v10, v12
	v_fma_f16 v27, v30, s5, v27
	v_add_f16_e32 v35, v36, v35
	v_fma_f16 v27, v28, s8, v27
	v_fma_f16 v30, v35, s6, v27
	v_pk_add_f16 v27, v6, v12
	v_pk_add_f16 v27, v27, v10
	v_fma_f16 v32, v28, s4, v32
	v_pk_add_f16 v27, v27, v14
	v_fma_f16 v32, v35, s6, v32
	v_pk_add_f16 v35, v27, v16
	v_add_f16_sdwa v27, v10, v14 dst_sel:DWORD dst_unused:UNUSED_PAD src0_sel:WORD_1 src1_sel:WORD_1
	v_lshrrev_b32_e32 v6, 16, v6
	v_fma_f16 v27, v27, -0.5, v6
	v_sub_f16_e32 v36, v12, v16
	v_fma_f16 v28, v36, s7, v27
	v_sub_f16_e32 v37, v10, v14
	v_sub_f16_sdwa v38, v12, v10 dst_sel:DWORD dst_unused:UNUSED_PAD src0_sel:WORD_1 src1_sel:WORD_1
	v_sub_f16_sdwa v39, v16, v14 dst_sel:DWORD dst_unused:UNUSED_PAD src0_sel:WORD_1 src1_sel:WORD_1
	v_fma_f16 v27, v36, s5, v27
	v_fma_f16 v28, v37, s8, v28
	v_add_f16_e32 v38, v38, v39
	v_fma_f16 v27, v37, s4, v27
	v_fma_f16 v39, v38, s6, v28
	v_fma_f16 v38, v38, s6, v27
	v_add_f16_sdwa v27, v12, v16 dst_sel:DWORD dst_unused:UNUSED_PAD src0_sel:WORD_1 src1_sel:WORD_1
	v_fma_f16 v6, v27, -0.5, v6
	v_fma_f16 v27, v37, s5, v6
	v_sub_f16_sdwa v10, v10, v12 dst_sel:DWORD dst_unused:UNUSED_PAD src0_sel:WORD_1 src1_sel:WORD_1
	v_sub_f16_sdwa v12, v14, v16 dst_sel:DWORD dst_unused:UNUSED_PAD src0_sel:WORD_1 src1_sel:WORD_1
	v_fma_f16 v27, v36, s8, v27
	v_add_f16_e32 v10, v10, v12
	v_fma_f16 v12, v10, s6, v27
	ds_read2_b32 v[27:28], v33 offset0:15 offset1:20
	v_fma_f16 v6, v37, s7, v6
	v_fma_f16 v6, v36, s4, v6
	v_fma_f16 v36, v10, s6, v6
	v_add_f16_e32 v6, v19, v21
	s_waitcnt lgkmcnt(0)
	v_fma_f16 v6, v6, -0.5, v27
	v_sub_f16_sdwa v10, v17, v23 dst_sel:DWORD dst_unused:UNUSED_PAD src0_sel:WORD_1 src1_sel:WORD_1
	v_fma_f16 v14, v10, s5, v6
	v_sub_f16_sdwa v16, v19, v21 dst_sel:DWORD dst_unused:UNUSED_PAD src0_sel:WORD_1 src1_sel:WORD_1
	v_sub_f16_e32 v37, v23, v21
	v_sub_f16_e32 v40, v17, v19
	v_fma_f16 v6, v10, s7, v6
	v_fma_f16 v14, v16, s4, v14
	v_add_f16_e32 v37, v40, v37
	v_fma_f16 v6, v16, s8, v6
	v_fma_f16 v14, v37, s6, v14
	;; [unrolled: 1-line block ×3, first 2 shown]
	v_add_f16_e32 v37, v17, v23
	v_fma_f16 v37, v37, -0.5, v27
	v_fma_f16 v40, v16, s7, v37
	v_fma_f16 v16, v16, s5, v37
	;; [unrolled: 1-line block ×4, first 2 shown]
	v_pk_add_f16 v16, v27, v17
	v_pk_add_f16 v16, v16, v19
	v_sub_f16_e32 v41, v21, v23
	v_sub_f16_e32 v42, v19, v17
	v_pk_add_f16 v16, v16, v21
	v_add_f16_e32 v41, v42, v41
	v_pk_add_f16 v37, v16, v23
	v_add_f16_sdwa v16, v19, v21 dst_sel:DWORD dst_unused:UNUSED_PAD src0_sel:WORD_1 src1_sel:WORD_1
	v_lshrrev_b32_e32 v27, 16, v27
	v_fma_f16 v40, v41, s6, v40
	v_fma_f16 v10, v41, s6, v10
	v_fma_f16 v16, v16, -0.5, v27
	v_sub_f16_e32 v41, v17, v23
	v_fma_f16 v42, v41, s7, v16
	v_sub_f16_e32 v43, v19, v21
	v_sub_f16_sdwa v44, v17, v19 dst_sel:DWORD dst_unused:UNUSED_PAD src0_sel:WORD_1 src1_sel:WORD_1
	v_sub_f16_sdwa v45, v23, v21 dst_sel:DWORD dst_unused:UNUSED_PAD src0_sel:WORD_1 src1_sel:WORD_1
	v_fma_f16 v16, v41, s5, v16
	v_fma_f16 v42, v43, s8, v42
	v_add_f16_e32 v44, v44, v45
	v_fma_f16 v16, v43, s4, v16
	v_fma_f16 v42, v44, s6, v42
	v_fma_f16 v16, v44, s6, v16
	v_add_f16_sdwa v44, v17, v23 dst_sel:DWORD dst_unused:UNUSED_PAD src0_sel:WORD_1 src1_sel:WORD_1
	v_fma_f16 v27, v44, -0.5, v27
	v_fma_f16 v44, v43, s5, v27
	v_sub_f16_sdwa v17, v19, v17 dst_sel:DWORD dst_unused:UNUSED_PAD src0_sel:WORD_1 src1_sel:WORD_1
	v_sub_f16_sdwa v19, v21, v23 dst_sel:DWORD dst_unused:UNUSED_PAD src0_sel:WORD_1 src1_sel:WORD_1
	v_fma_f16 v21, v43, s7, v27
	ds_read_b32 v50, v33 offset:580
	ds_read2_b32 v[51:52], v33 offset0:5 offset1:10
	v_fma_f16 v44, v41, s8, v44
	v_add_f16_e32 v17, v17, v19
	v_fma_f16 v21, v41, s4, v21
	ds_read2_b32 v[53:54], v33 offset0:65 offset1:70
	ds_read2_b32 v[57:58], v33 offset0:95 offset1:100
	;; [unrolled: 1-line block ×4, first 2 shown]
	v_fma_f16 v19, v17, s6, v44
	v_fma_f16 v17, v17, s6, v21
	v_mul_f16_e32 v21, 0x3a79, v14
	v_mul_f16_e32 v14, 0xb8b4, v14
	v_fma_f16 v21, v42, s4, v21
	v_mul_f16_e32 v23, 0x3b9c, v19
	v_fma_f16 v42, v42, s0, v14
	;; [unrolled: 2-line block ×4, first 2 shown]
	v_mul_f16_e32 v14, 0x34f2, v17
	v_add_f16_e32 v47, v32, v23
	v_fma_f16 v27, v17, s5, -v27
	v_mul_f16_e32 v41, 0x3a79, v6
	v_fma_f16 v40, v10, s7, -v14
	v_mul_f16_e32 v10, 0x3a79, v16
	v_sub_f16_e32 v14, v32, v23
	s_waitcnt lgkmcnt(2)
	v_add_f16_e32 v23, v53, v57
	v_add_f16_e32 v48, v30, v27
	v_fma_f16 v41, v16, s4, -v41
	v_fma_f16 v44, v6, s8, -v10
	v_sub_f16_e32 v6, v30, v27
	v_fma_f16 v23, v23, -0.5, v51
	s_waitcnt lgkmcnt(0)
	v_sub_f16_sdwa v27, v59, v61 dst_sel:DWORD dst_unused:UNUSED_PAD src0_sel:WORD_1 src1_sel:WORD_1
	v_add_f16_e32 v65, v29, v21
	v_add_f16_e32 v43, v31, v41
	v_sub_f16_e32 v16, v29, v21
	v_sub_f16_e32 v10, v31, v41
	v_fma_f16 v29, v27, s5, v23
	v_sub_f16_sdwa v30, v53, v57 dst_sel:DWORD dst_unused:UNUSED_PAD src0_sel:WORD_1 src1_sel:WORD_1
	v_sub_f16_e32 v31, v61, v57
	v_sub_f16_e32 v32, v59, v53
	v_fma_f16 v23, v27, s7, v23
	v_fma_f16 v29, v30, s4, v29
	v_add_f16_e32 v31, v32, v31
	v_fma_f16 v23, v30, s8, v23
	v_fma_f16 v29, v31, s6, v29
	;; [unrolled: 1-line block ×3, first 2 shown]
	v_add_f16_e32 v31, v59, v61
	v_fma_f16 v31, v31, -0.5, v51
	v_pk_add_f16 v64, v35, v37
	v_add_f16_e32 v49, v12, v19
	v_add_f16_e32 v56, v36, v40
	v_sub_f16_e32 v17, v12, v19
	v_sub_f16_e32 v12, v36, v40
	v_pk_add_f16 v46, v35, v37 neg_lo:[0,1] neg_hi:[0,1]
	v_fma_f16 v32, v30, s7, v31
	v_sub_f16_e32 v35, v57, v61
	v_sub_f16_e32 v36, v53, v59
	v_fma_f16 v30, v30, s5, v31
	v_fma_f16 v32, v27, s4, v32
	v_add_f16_e32 v35, v36, v35
	v_fma_f16 v27, v27, s8, v30
	v_fma_f16 v30, v35, s6, v27
	v_pk_add_f16 v27, v51, v59
	v_pk_add_f16 v27, v27, v53
	;; [unrolled: 1-line block ×3, first 2 shown]
	v_add_f16_e32 v66, v39, v42
	v_sub_f16_e32 v21, v39, v42
	v_pk_add_f16 v39, v27, v61
	v_add_f16_sdwa v27, v53, v57 dst_sel:DWORD dst_unused:UNUSED_PAD src0_sel:WORD_1 src1_sel:WORD_1
	v_lshrrev_b32_e32 v31, 16, v51
	v_fma_f16 v36, v35, s6, v32
	v_fma_f16 v27, v27, -0.5, v31
	v_sub_f16_e32 v32, v59, v61
	v_add_f16_e32 v45, v38, v44
	v_sub_f16_e32 v19, v38, v44
	v_fma_f16 v35, v32, s7, v27
	v_sub_f16_e32 v37, v53, v57
	v_sub_f16_sdwa v38, v59, v53 dst_sel:DWORD dst_unused:UNUSED_PAD src0_sel:WORD_1 src1_sel:WORD_1
	v_sub_f16_sdwa v40, v61, v57 dst_sel:DWORD dst_unused:UNUSED_PAD src0_sel:WORD_1 src1_sel:WORD_1
	v_fma_f16 v27, v32, s5, v27
	v_add_f16_e32 v38, v38, v40
	v_fma_f16 v27, v37, s4, v27
	v_fma_f16 v51, v38, s6, v27
	v_add_f16_sdwa v27, v59, v61 dst_sel:DWORD dst_unused:UNUSED_PAD src0_sel:WORD_1 src1_sel:WORD_1
	v_fma_f16 v35, v37, s8, v35
	v_fma_f16 v27, v27, -0.5, v31
	v_fma_f16 v44, v38, s6, v35
	v_fma_f16 v31, v37, s5, v27
	v_sub_f16_sdwa v35, v53, v59 dst_sel:DWORD dst_unused:UNUSED_PAD src0_sel:WORD_1 src1_sel:WORD_1
	v_sub_f16_sdwa v38, v57, v61 dst_sel:DWORD dst_unused:UNUSED_PAD src0_sel:WORD_1 src1_sel:WORD_1
	v_fma_f16 v27, v37, s7, v27
	v_add_f16_e32 v35, v35, v38
	v_fma_f16 v27, v32, s4, v27
	v_fma_f16 v31, v32, s8, v31
	;; [unrolled: 1-line block ×3, first 2 shown]
	v_add_f16_e32 v27, v20, v22
	v_fma_f16 v53, v35, s6, v31
	v_fma_f16 v27, v27, -0.5, v28
	v_sub_f16_sdwa v31, v18, v24 dst_sel:DWORD dst_unused:UNUSED_PAD src0_sel:WORD_1 src1_sel:WORD_1
	v_fma_f16 v32, v31, s5, v27
	v_sub_f16_sdwa v35, v20, v22 dst_sel:DWORD dst_unused:UNUSED_PAD src0_sel:WORD_1 src1_sel:WORD_1
	v_sub_f16_e32 v37, v24, v22
	v_sub_f16_e32 v38, v18, v20
	v_fma_f16 v32, v35, s4, v32
	v_add_f16_e32 v37, v38, v37
	v_fma_f16 v38, v37, s6, v32
	v_fma_f16 v27, v31, s7, v27
	v_add_f16_e32 v32, v18, v24
	v_fma_f16 v27, v35, s8, v27
	v_fma_f16 v32, v32, -0.5, v28
	v_fma_f16 v27, v37, s6, v27
	v_fma_f16 v37, v35, s7, v32
	;; [unrolled: 1-line block ×5, first 2 shown]
	v_pk_add_f16 v32, v28, v18
	v_pk_add_f16 v32, v32, v20
	;; [unrolled: 1-line block ×3, first 2 shown]
	v_sub_f16_e32 v40, v22, v24
	v_sub_f16_e32 v41, v20, v18
	v_pk_add_f16 v57, v32, v24
	v_add_f16_sdwa v32, v20, v22 dst_sel:DWORD dst_unused:UNUSED_PAD src0_sel:WORD_1 src1_sel:WORD_1
	v_lshrrev_b32_e32 v28, 16, v28
	v_add_f16_e32 v40, v41, v40
	v_fma_f16 v32, v32, -0.5, v28
	v_sub_f16_e32 v35, v18, v24
	v_fma_f16 v37, v40, s6, v37
	v_fma_f16 v31, v40, s6, v31
	;; [unrolled: 1-line block ×3, first 2 shown]
	v_sub_f16_e32 v41, v20, v22
	v_sub_f16_sdwa v42, v18, v20 dst_sel:DWORD dst_unused:UNUSED_PAD src0_sel:WORD_1 src1_sel:WORD_1
	v_sub_f16_sdwa v59, v24, v22 dst_sel:DWORD dst_unused:UNUSED_PAD src0_sel:WORD_1 src1_sel:WORD_1
	v_fma_f16 v32, v35, s5, v32
	v_add_f16_e32 v42, v42, v59
	v_fma_f16 v32, v41, s4, v32
	v_fma_f16 v61, v42, s6, v32
	v_add_f16_sdwa v32, v18, v24 dst_sel:DWORD dst_unused:UNUSED_PAD src0_sel:WORD_1 src1_sel:WORD_1
	v_fma_f16 v28, v32, -0.5, v28
	v_fma_f16 v32, v41, s5, v28
	v_sub_f16_sdwa v18, v20, v18 dst_sel:DWORD dst_unused:UNUSED_PAD src0_sel:WORD_1 src1_sel:WORD_1
	v_sub_f16_sdwa v20, v22, v24 dst_sel:DWORD dst_unused:UNUSED_PAD src0_sel:WORD_1 src1_sel:WORD_1
	v_fma_f16 v22, v41, s7, v28
	v_fma_f16 v40, v41, s8, v40
	v_fma_f16 v32, v35, s8, v32
	v_add_f16_e32 v18, v18, v20
	v_fma_f16 v22, v35, s4, v22
	v_fma_f16 v59, v42, s6, v40
	;; [unrolled: 1-line block ×4, first 2 shown]
	v_mul_f16_e32 v18, 0x3a79, v38
	v_fma_f16 v24, v59, s4, v18
	v_mul_f16_e32 v18, 0x3b9c, v20
	v_fma_f16 v28, v37, s6, v18
	v_mul_f16_e32 v37, 0xbb9c, v37
	v_mul_f16_e32 v18, 0x34f2, v31
	v_fma_f16 v68, v20, s6, v37
	v_mul_f16_e32 v20, 0x34f2, v22
	v_fma_f16 v63, v22, s5, -v18
	v_mul_f16_e32 v18, 0x3a79, v27
	v_mul_f16_e32 v38, 0xb8b4, v38
	v_fma_f16 v69, v31, s7, -v20
	v_mul_f16_e32 v20, 0x3a79, v61
	v_add_f16_e32 v32, v36, v28
	v_fma_f16 v67, v61, s4, -v18
	v_pk_add_f16 v41, v39, v57
	v_fma_f16 v59, v59, s0, v38
	v_fma_f16 v61, v27, s8, -v20
	v_sub_f16_e32 v27, v36, v28
	v_pk_add_f16 v36, v39, v57 neg_lo:[0,1] neg_hi:[0,1]
	v_add_f16_e32 v39, v54, v58
	v_add_f16_e32 v40, v29, v24
	v_add_f16_e32 v42, v44, v59
	v_sub_f16_e32 v24, v29, v24
	v_sub_f16_e32 v29, v44, v59
	v_fma_f16 v39, v39, -0.5, v52
	v_sub_f16_sdwa v44, v60, v62 dst_sel:DWORD dst_unused:UNUSED_PAD src0_sel:WORD_1 src1_sel:WORD_1
	v_add_f16_e32 v35, v30, v63
	v_add_f16_e32 v18, v23, v67
	;; [unrolled: 1-line block ×5, first 2 shown]
	v_sub_f16_e32 v20, v30, v63
	v_sub_f16_e32 v22, v23, v67
	v_sub_f16_e32 v30, v53, v68
	v_sub_f16_e32 v23, v55, v69
	v_sub_f16_e32 v28, v51, v61
	v_fma_f16 v51, v44, s5, v39
	v_sub_f16_sdwa v53, v54, v58 dst_sel:DWORD dst_unused:UNUSED_PAD src0_sel:WORD_1 src1_sel:WORD_1
	v_sub_f16_e32 v55, v62, v58
	v_sub_f16_e32 v57, v60, v54
	v_fma_f16 v39, v44, s7, v39
	v_fma_f16 v51, v53, s4, v51
	v_add_f16_e32 v55, v57, v55
	v_fma_f16 v39, v53, s8, v39
	v_fma_f16 v67, v55, s6, v51
	;; [unrolled: 1-line block ×3, first 2 shown]
	v_add_f16_e32 v39, v60, v62
	v_fma_f16 v39, v39, -0.5, v52
	v_fma_f16 v51, v53, s7, v39
	v_sub_f16_e32 v57, v58, v62
	v_sub_f16_e32 v59, v54, v60
	v_fma_f16 v51, v44, s4, v51
	v_add_f16_e32 v57, v59, v57
	v_fma_f16 v39, v53, s5, v39
	v_fma_f16 v68, v57, s6, v51
	;; [unrolled: 1-line block ×3, first 2 shown]
	v_add_f16_sdwa v44, v54, v58 dst_sel:DWORD dst_unused:UNUSED_PAD src0_sel:WORD_1 src1_sel:WORD_1
	v_lshrrev_b32_e32 v51, 16, v52
	v_fma_f16 v53, v57, s6, v39
	v_pk_add_f16 v39, v52, v60
	v_fma_f16 v44, v44, -0.5, v51
	v_sub_f16_e32 v52, v60, v62
	v_fma_f16 v57, v52, s7, v44
	v_sub_f16_e32 v59, v54, v58
	v_sub_f16_sdwa v61, v60, v54 dst_sel:DWORD dst_unused:UNUSED_PAD src0_sel:WORD_1 src1_sel:WORD_1
	v_sub_f16_sdwa v63, v62, v58 dst_sel:DWORD dst_unused:UNUSED_PAD src0_sel:WORD_1 src1_sel:WORD_1
	v_fma_f16 v44, v52, s5, v44
	v_add_f16_e32 v61, v61, v63
	v_fma_f16 v44, v59, s4, v44
	v_fma_f16 v70, v61, s6, v44
	v_add_f16_sdwa v44, v60, v62 dst_sel:DWORD dst_unused:UNUSED_PAD src0_sel:WORD_1 src1_sel:WORD_1
	v_fma_f16 v57, v59, s8, v57
	v_fma_f16 v44, v44, -0.5, v51
	v_pk_add_f16 v39, v39, v54
	v_fma_f16 v69, v61, s6, v57
	v_fma_f16 v51, v59, s5, v44
	v_sub_f16_sdwa v54, v54, v60 dst_sel:DWORD dst_unused:UNUSED_PAD src0_sel:WORD_1 src1_sel:WORD_1
	v_sub_f16_sdwa v57, v58, v62 dst_sel:DWORD dst_unused:UNUSED_PAD src0_sel:WORD_1 src1_sel:WORD_1
	v_fma_f16 v44, v59, s7, v44
	v_add_f16_e32 v54, v54, v57
	v_fma_f16 v44, v52, s4, v44
	v_fma_f16 v51, v52, s8, v51
	;; [unrolled: 1-line block ×3, first 2 shown]
	v_add_f16_e32 v44, v13, v15
	v_fma_f16 v71, v54, s6, v51
	v_fma_f16 v44, v44, -0.5, v11
	v_sub_f16_sdwa v51, v9, v50 dst_sel:DWORD dst_unused:UNUSED_PAD src0_sel:WORD_1 src1_sel:WORD_1
	v_pk_add_f16 v39, v39, v58
	v_fma_f16 v54, v51, s5, v44
	v_sub_f16_sdwa v57, v13, v15 dst_sel:DWORD dst_unused:UNUSED_PAD src0_sel:WORD_1 src1_sel:WORD_1
	v_sub_f16_e32 v58, v50, v15
	v_sub_f16_e32 v59, v9, v13
	v_fma_f16 v44, v51, s7, v44
	v_add_f16_e32 v58, v59, v58
	v_fma_f16 v44, v57, s8, v44
	v_fma_f16 v72, v58, s6, v44
	v_add_f16_e32 v44, v9, v50
	v_fma_f16 v54, v57, s4, v54
	v_fma_f16 v44, v44, -0.5, v11
	v_fma_f16 v54, v58, s6, v54
	v_fma_f16 v58, v57, s7, v44
	v_sub_f16_e32 v59, v15, v50
	v_sub_f16_e32 v60, v13, v9
	v_fma_f16 v44, v57, s5, v44
	v_add_f16_e32 v59, v60, v59
	v_fma_f16 v44, v51, s8, v44
	v_fma_f16 v58, v51, s4, v58
	;; [unrolled: 1-line block ×3, first 2 shown]
	v_pk_add_f16 v44, v11, v9
	v_add_f16_sdwa v57, v13, v15 dst_sel:DWORD dst_unused:UNUSED_PAD src0_sel:WORD_1 src1_sel:WORD_1
	v_lshrrev_b32_e32 v11, 16, v11
	v_fma_f16 v60, v59, s6, v58
	v_fma_f16 v57, v57, -0.5, v11
	v_sub_f16_e32 v58, v9, v50
	v_pk_add_f16 v39, v39, v62
	v_fma_f16 v59, v58, s7, v57
	v_sub_f16_e32 v61, v13, v15
	v_sub_f16_sdwa v62, v9, v13 dst_sel:DWORD dst_unused:UNUSED_PAD src0_sel:WORD_1 src1_sel:WORD_1
	v_sub_f16_sdwa v63, v50, v15 dst_sel:DWORD dst_unused:UNUSED_PAD src0_sel:WORD_1 src1_sel:WORD_1
	v_fma_f16 v57, v58, s5, v57
	v_add_f16_e32 v62, v62, v63
	v_fma_f16 v57, v61, s4, v57
	v_fma_f16 v73, v62, s6, v57
	v_add_f16_sdwa v57, v9, v50 dst_sel:DWORD dst_unused:UNUSED_PAD src0_sel:WORD_1 src1_sel:WORD_1
	v_mul_u32_u24_e32 v4, 10, v3
	v_fma_f16 v11, v57, -0.5, v11
	v_lshlrev_b32_e32 v4, 2, v4
	v_pk_add_f16 v44, v44, v13
	v_fma_f16 v57, v61, s5, v11
	v_sub_f16_sdwa v9, v13, v9 dst_sel:DWORD dst_unused:UNUSED_PAD src0_sel:WORD_1 src1_sel:WORD_1
	v_sub_f16_sdwa v13, v15, v50 dst_sel:DWORD dst_unused:UNUSED_PAD src0_sel:WORD_1 src1_sel:WORD_1
	v_fma_f16 v11, v61, s7, v11
	v_add3_u32 v4, 0, v4, v25
	v_fma_f16 v59, v61, s8, v59
	v_fma_f16 v57, v58, s8, v57
	v_add_f16_e32 v9, v9, v13
	v_fma_f16 v11, v58, s4, v11
	v_pack_b32_f16 v10, v10, v19
	v_pack_b32_f16 v6, v6, v12
	v_fma_f16 v59, v62, s6, v59
	v_fma_f16 v13, v9, s6, v57
	;; [unrolled: 1-line block ×3, first 2 shown]
	v_mul_f16_e32 v9, 0x3a79, v54
	s_waitcnt lgkmcnt(0)
	; wave barrier
	ds_write2_b32 v4, v6, v10 offset0:8 offset1:9
	v_pack_b32_f16 v6, v40, v42
	v_pk_add_f16 v44, v44, v15
	v_fma_f16 v15, v59, s4, v9
	v_mul_f16_e32 v9, 0x3b9c, v13
	ds_write2_b32 v4, v41, v6 offset0:50 offset1:51
	v_pack_b32_f16 v6, v35, v38
	v_pack_b32_f16 v10, v32, v37
	v_pk_add_f16 v44, v44, v50
	v_fma_f16 v50, v60, s6, v9
	v_mul_f16_e32 v9, 0x34f2, v51
	v_mul_f16_e32 v54, 0xb8b4, v54
	ds_write2_b32 v4, v10, v6 offset0:52 offset1:53
	v_pack_b32_f16 v6, v18, v31
	v_fma_f16 v74, v11, s5, -v9
	v_fma_f16 v54, v59, s0, v54
	v_mul_f16_e32 v59, 0xbb9c, v60
	v_mul_f16_e32 v11, 0x34f2, v11
	ds_write2_b32 v4, v6, v36 offset0:54 offset1:55
	v_pack_b32_f16 v6, v24, v29
	v_pack_b32_f16 v10, v27, v30
	v_add_f16_e32 v61, v67, v15
	v_mul_f16_e32 v9, 0x3a79, v72
	v_add_f16_e32 v63, v69, v54
	v_fma_f16 v76, v13, s6, v59
	v_fma_f16 v77, v51, s7, -v11
	v_mul_f16_e32 v11, 0x3a79, v73
	ds_write2_b32 v4, v6, v10 offset0:56 offset1:57
	v_pack_b32_f16 v6, v22, v28
	v_pack_b32_f16 v10, v20, v23
	v_add_f16_e32 v57, v68, v50
	v_add_f16_e32 v58, v53, v74
	v_fma_f16 v75, v73, s4, -v9
	v_pk_add_f16 v62, v39, v44
	v_add_f16_e32 v59, v71, v76
	v_add_f16_e32 v60, v52, v77
	v_fma_f16 v72, v72, s8, -v11
	ds_write2_b32 v4, v10, v6 offset0:58 offset1:59
	v_pack_b32_f16 v6, v61, v63
	v_add_f16_e32 v9, v55, v75
	v_add_f16_e32 v51, v70, v72
	ds_write2_b32 v4, v62, v6 offset0:100 offset1:101
	v_pack_b32_f16 v6, v58, v60
	v_pack_b32_f16 v10, v57, v59
	v_sub_f16_e32 v13, v67, v15
	v_sub_f16_e32 v15, v68, v50
	;; [unrolled: 1-line block ×5, first 2 shown]
	ds_write2_b32 v4, v10, v6 offset0:102 offset1:103
	v_pk_add_f16 v6, v39, v44 neg_lo:[0,1] neg_hi:[0,1]
	v_pack_b32_f16 v9, v9, v51
	v_sub_f16_e32 v50, v55, v75
	v_sub_f16_e32 v52, v52, v77
	;; [unrolled: 1-line block ×3, first 2 shown]
	ds_write2_b32 v4, v9, v6 offset0:104 offset1:105
	v_pack_b32_f16 v6, v13, v53
	v_pack_b32_f16 v9, v15, v54
	;; [unrolled: 1-line block ×8, first 2 shown]
	ds_write2_b32 v4, v6, v9 offset0:106 offset1:107
	v_pack_b32_f16 v6, v50, v55
	v_pack_b32_f16 v9, v11, v52
	ds_write2_b32 v4, v64, v65 offset1:1
	ds_write2_b32 v4, v47, v48 offset0:2 offset1:3
	ds_write2_b32 v4, v43, v46 offset0:4 offset1:5
	;; [unrolled: 1-line block ×4, first 2 shown]
	v_mul_lo_u16_sdwa v4, v34, s9 dst_sel:DWORD dst_unused:UNUSED_PAD src0_sel:BYTE_0 src1_sel:DWORD
	v_lshrrev_b16_e32 v4, 11, v4
	v_mul_lo_u16_e32 v4, 10, v4
	v_sub_u16_e32 v13, v34, v4
	v_mov_b32_e32 v15, 4
	v_lshlrev_b32_sdwa v4, v15, v13 dst_sel:DWORD dst_unused:UNUSED_PAD src0_sel:DWORD src1_sel:BYTE_0
	s_waitcnt lgkmcnt(0)
	; wave barrier
	s_waitcnt lgkmcnt(0)
	global_load_dwordx4 v[29:32], v4, s[12:13]
	v_add_u32_e32 v36, 5, v3
	v_mov_b32_e32 v6, 0
	v_lshlrev_b64 v[9:10], 2, v[5:6]
	v_lshlrev_b32_e32 v5, 2, v36
	v_lshlrev_b64 v[4:5], 2, v[5:6]
	v_mov_b32_e32 v11, s13
	v_add_co_u32_e64 v4, s[0:1], s12, v4
	v_addc_co_u32_e64 v5, s[0:1], v11, v5, s[0:1]
	global_load_dwordx4 v[37:40], v[4:5], off
	v_mov_b32_e32 v5, s13
	v_add_co_u32_e64 v4, s[0:1], s12, v9
	v_addc_co_u32_e64 v5, s[0:1], v5, v10, s[0:1]
	global_load_dwordx4 v[51:54], v[4:5], off
	v_add_u32_e32 v35, 25, v3
	v_mul_lo_u16_sdwa v21, v35, s9 dst_sel:DWORD dst_unused:UNUSED_PAD src0_sel:BYTE_0 src1_sel:DWORD
	v_lshrrev_b16_e32 v21, 11, v21
	v_mul_lo_u16_e32 v21, 10, v21
	v_sub_u16_e32 v81, v35, v21
	v_lshlrev_b32_sdwa v15, v15, v81 dst_sel:DWORD dst_unused:UNUSED_PAD src0_sel:DWORD src1_sel:BYTE_0
	ds_read2_b32 v[4:5], v33 offset0:25 offset1:30
	ds_read_b32 v69, v26
	ds_read2_b32 v[44:45], v33 offset0:55 offset1:60
	ds_read2_b32 v[47:48], v33 offset0:85 offset1:90
	;; [unrolled: 1-line block ×3, first 2 shown]
	ds_read_b32 v70, v33 offset:580
	ds_read2_b32 v[11:12], v33 offset0:5 offset1:10
	ds_read2_b32 v[9:10], v33 offset0:15 offset1:20
	;; [unrolled: 1-line block ×10, first 2 shown]
	global_load_dwordx4 v[55:58], v15, s[12:13]
	s_waitcnt lgkmcnt(3)
	v_lshrrev_b32_e32 v16, 16, v20
	s_waitcnt lgkmcnt(2)
	v_lshrrev_b32_e32 v18, 16, v23
	;; [unrolled: 2-line block ×4, first 2 shown]
	v_lshrrev_b32_e32 v43, 16, v61
	v_lshrrev_b32_e32 v46, 16, v63
	v_lshrrev_b32_e32 v75, 16, v65
	v_lshrrev_b32_e32 v76, 16, v67
	v_lshrrev_b32_e32 v77, 16, v62
	v_lshrrev_b32_e32 v78, 16, v64
	v_lshrrev_b32_e32 v71, 16, v5
	v_lshrrev_b32_e32 v80, 16, v66
	v_lshrrev_b32_e32 v72, 16, v45
	v_lshrrev_b32_e32 v73, 16, v48
	v_lshrrev_b32_e32 v74, 16, v60
	v_lshrrev_b32_e32 v28, 16, v69
	v_lshrrev_b32_e32 v17, 16, v11
	v_lshrrev_b32_e32 v14, 16, v12
	s_waitcnt lgkmcnt(0)
	; wave barrier
	s_waitcnt vmcnt(3)
	v_mul_f16_sdwa v15, v16, v29 dst_sel:DWORD dst_unused:UNUSED_PAD src0_sel:DWORD src1_sel:WORD_1
	v_fma_f16 v21, v20, v29, -v15
	v_mul_f16_sdwa v15, v20, v29 dst_sel:DWORD dst_unused:UNUSED_PAD src0_sel:DWORD src1_sel:WORD_1
	v_fma_f16 v15, v16, v29, v15
	v_mul_f16_sdwa v16, v18, v30 dst_sel:DWORD dst_unused:UNUSED_PAD src0_sel:DWORD src1_sel:WORD_1
	v_fma_f16 v27, v23, v30, -v16
	v_mul_f16_sdwa v16, v23, v30 dst_sel:DWORD dst_unused:UNUSED_PAD src0_sel:DWORD src1_sel:WORD_1
	v_fma_f16 v16, v18, v30, v16
	v_mul_f16_sdwa v18, v24, v31 dst_sel:DWORD dst_unused:UNUSED_PAD src0_sel:DWORD src1_sel:WORD_1
	v_mul_f16_sdwa v20, v50, v32 dst_sel:DWORD dst_unused:UNUSED_PAD src0_sel:DWORD src1_sel:WORD_1
	;; [unrolled: 1-line block ×3, first 2 shown]
	v_fma_f16 v30, v42, v31, -v18
	v_mul_f16_sdwa v18, v42, v31 dst_sel:DWORD dst_unused:UNUSED_PAD src0_sel:DWORD src1_sel:WORD_1
	v_fma_f16 v20, v79, v32, v20
	v_fma_f16 v32, v50, v32, -v23
	v_lshrrev_b32_e32 v23, 16, v19
	v_fma_f16 v18, v24, v31, v18
	s_waitcnt vmcnt(2)
	v_mul_f16_sdwa v24, v23, v37 dst_sel:DWORD dst_unused:UNUSED_PAD src0_sel:DWORD src1_sel:WORD_1
	v_lshrrev_b32_e32 v31, 16, v22
	v_fma_f16 v24, v19, v37, -v24
	v_mul_f16_sdwa v19, v19, v37 dst_sel:DWORD dst_unused:UNUSED_PAD src0_sel:DWORD src1_sel:WORD_1
	v_fma_f16 v19, v23, v37, v19
	v_mul_f16_sdwa v23, v31, v38 dst_sel:DWORD dst_unused:UNUSED_PAD src0_sel:DWORD src1_sel:WORD_1
	v_fma_f16 v29, v22, v38, -v23
	v_mul_f16_sdwa v23, v61, v37 dst_sel:DWORD dst_unused:UNUSED_PAD src0_sel:DWORD src1_sel:WORD_1
	v_lshrrev_b32_e32 v42, 16, v41
	v_mul_f16_sdwa v22, v22, v38 dst_sel:DWORD dst_unused:UNUSED_PAD src0_sel:DWORD src1_sel:WORD_1
	v_fma_f16 v84, v43, v37, v23
	v_mul_f16_sdwa v23, v43, v37 dst_sel:DWORD dst_unused:UNUSED_PAD src0_sel:DWORD src1_sel:WORD_1
	v_fma_f16 v37, v61, v37, -v23
	v_fma_f16 v23, v31, v38, v22
	v_mul_f16_sdwa v22, v42, v39 dst_sel:DWORD dst_unused:UNUSED_PAD src0_sel:DWORD src1_sel:WORD_1
	v_lshrrev_b32_e32 v79, 16, v49
	v_fma_f16 v43, v41, v39, -v22
	v_mul_f16_sdwa v22, v41, v39 dst_sel:DWORD dst_unused:UNUSED_PAD src0_sel:DWORD src1_sel:WORD_1
	v_mul_f16_sdwa v31, v63, v38 dst_sel:DWORD dst_unused:UNUSED_PAD src0_sel:DWORD src1_sel:WORD_1
	;; [unrolled: 1-line block ×3, first 2 shown]
	v_fma_f16 v31, v46, v38, v31
	v_fma_f16 v41, v63, v38, -v41
	v_fma_f16 v38, v42, v39, v22
	v_mul_f16_sdwa v22, v79, v40 dst_sel:DWORD dst_unused:UNUSED_PAD src0_sel:DWORD src1_sel:WORD_1
	v_mul_f16_sdwa v42, v65, v39 dst_sel:DWORD dst_unused:UNUSED_PAD src0_sel:DWORD src1_sel:WORD_1
	v_fma_f16 v50, v49, v40, -v22
	v_mul_f16_sdwa v22, v49, v40 dst_sel:DWORD dst_unused:UNUSED_PAD src0_sel:DWORD src1_sel:WORD_1
	v_fma_f16 v49, v75, v39, v42
	v_mul_f16_sdwa v42, v75, v39 dst_sel:DWORD dst_unused:UNUSED_PAD src0_sel:DWORD src1_sel:WORD_1
	v_fma_f16 v39, v65, v39, -v42
	v_fma_f16 v42, v79, v40, v22
	v_mul_f16_sdwa v22, v67, v40 dst_sel:DWORD dst_unused:UNUSED_PAD src0_sel:DWORD src1_sel:WORD_1
	v_fma_f16 v85, v76, v40, v22
	v_mul_f16_sdwa v22, v76, v40 dst_sel:DWORD dst_unused:UNUSED_PAD src0_sel:DWORD src1_sel:WORD_1
	v_fma_f16 v40, v67, v40, -v22
	s_waitcnt vmcnt(1)
	v_mul_f16_sdwa v22, v77, v51 dst_sel:DWORD dst_unused:UNUSED_PAD src0_sel:DWORD src1_sel:WORD_1
	v_fma_f16 v86, v62, v51, -v22
	v_mul_f16_sdwa v62, v62, v51 dst_sel:DWORD dst_unused:UNUSED_PAD src0_sel:DWORD src1_sel:WORD_1
	v_fma_f16 v87, v77, v51, v62
	v_mul_f16_sdwa v62, v78, v52 dst_sel:DWORD dst_unused:UNUSED_PAD src0_sel:DWORD src1_sel:WORD_1
	v_mul_f16_sdwa v63, v5, v51 dst_sel:DWORD dst_unused:UNUSED_PAD src0_sel:DWORD src1_sel:WORD_1
	v_fma_f16 v88, v64, v52, -v62
	v_mul_f16_sdwa v62, v64, v52 dst_sel:DWORD dst_unused:UNUSED_PAD src0_sel:DWORD src1_sel:WORD_1
	v_fma_f16 v67, v71, v51, v63
	v_mul_f16_sdwa v63, v71, v51 dst_sel:DWORD dst_unused:UNUSED_PAD src0_sel:DWORD src1_sel:WORD_1
	v_fma_f16 v51, v5, v51, -v63
	v_fma_f16 v89, v78, v52, v62
	v_mul_f16_sdwa v5, v80, v53 dst_sel:DWORD dst_unused:UNUSED_PAD src0_sel:DWORD src1_sel:WORD_1
	v_mul_f16_sdwa v62, v45, v52 dst_sel:DWORD dst_unused:UNUSED_PAD src0_sel:DWORD src1_sel:WORD_1
	v_lshrrev_b32_e32 v61, 16, v68
	v_fma_f16 v90, v66, v53, -v5
	v_mul_f16_sdwa v5, v66, v53 dst_sel:DWORD dst_unused:UNUSED_PAD src0_sel:DWORD src1_sel:WORD_1
	v_fma_f16 v71, v72, v52, v62
	v_mul_f16_sdwa v62, v72, v52 dst_sel:DWORD dst_unused:UNUSED_PAD src0_sel:DWORD src1_sel:WORD_1
	v_fma_f16 v45, v45, v52, -v62
	v_fma_f16 v52, v80, v53, v5
	v_mul_f16_sdwa v5, v61, v54 dst_sel:DWORD dst_unused:UNUSED_PAD src0_sel:DWORD src1_sel:WORD_1
	v_mul_f16_sdwa v62, v48, v53 dst_sel:DWORD dst_unused:UNUSED_PAD src0_sel:DWORD src1_sel:WORD_1
	v_fma_f16 v91, v68, v54, -v5
	v_mul_f16_sdwa v5, v68, v54 dst_sel:DWORD dst_unused:UNUSED_PAD src0_sel:DWORD src1_sel:WORD_1
	v_fma_f16 v72, v73, v53, v62
	v_mul_f16_sdwa v62, v73, v53 dst_sel:DWORD dst_unused:UNUSED_PAD src0_sel:DWORD src1_sel:WORD_1
	v_fma_f16 v48, v48, v53, -v62
	v_fma_f16 v53, v61, v54, v5
	v_mul_f16_sdwa v5, v60, v54 dst_sel:DWORD dst_unused:UNUSED_PAD src0_sel:DWORD src1_sel:WORD_1
	v_fma_f16 v61, v74, v54, v5
	v_mul_f16_sdwa v5, v74, v54 dst_sel:DWORD dst_unused:UNUSED_PAD src0_sel:DWORD src1_sel:WORD_1
	v_fma_f16 v54, v60, v54, -v5
	v_lshrrev_b32_e32 v60, 16, v44
	s_waitcnt vmcnt(0)
	v_mul_f16_sdwa v64, v60, v55 dst_sel:DWORD dst_unused:UNUSED_PAD src0_sel:DWORD src1_sel:WORD_1
	v_lshrrev_b32_e32 v62, 16, v47
	v_fma_f16 v78, v44, v55, -v64
	v_mul_f16_sdwa v44, v44, v55 dst_sel:DWORD dst_unused:UNUSED_PAD src0_sel:DWORD src1_sel:WORD_1
	v_fma_f16 v75, v60, v55, v44
	v_mul_f16_sdwa v44, v62, v56 dst_sel:DWORD dst_unused:UNUSED_PAD src0_sel:DWORD src1_sel:WORD_1
	v_lshrrev_b32_e32 v63, 16, v59
	v_fma_f16 v80, v47, v56, -v44
	v_mul_f16_sdwa v44, v47, v56 dst_sel:DWORD dst_unused:UNUSED_PAD src0_sel:DWORD src1_sel:WORD_1
	v_mov_b32_e32 v5, 2
	v_fma_f16 v76, v62, v56, v44
	v_mul_f16_sdwa v44, v63, v57 dst_sel:DWORD dst_unused:UNUSED_PAD src0_sel:DWORD src1_sel:WORD_1
	v_lshlrev_b32_sdwa v13, v5, v13 dst_sel:DWORD dst_unused:UNUSED_PAD src0_sel:DWORD src1_sel:BYTE_0
	v_lshlrev_b32_sdwa v5, v5, v81 dst_sel:DWORD dst_unused:UNUSED_PAD src0_sel:DWORD src1_sel:BYTE_0
	v_lshrrev_b32_e32 v64, 16, v70
	v_fma_f16 v81, v59, v57, -v44
	v_mul_f16_sdwa v44, v59, v57 dst_sel:DWORD dst_unused:UNUSED_PAD src0_sel:DWORD src1_sel:WORD_1
	v_fma_f16 v77, v63, v57, v44
	v_mul_f16_sdwa v44, v64, v58 dst_sel:DWORD dst_unused:UNUSED_PAD src0_sel:DWORD src1_sel:WORD_1
	v_fma_f16 v83, v70, v58, -v44
	v_mul_f16_sdwa v44, v70, v58 dst_sel:DWORD dst_unused:UNUSED_PAD src0_sel:DWORD src1_sel:WORD_1
	v_fma_f16 v82, v64, v58, v44
	v_add_f16_e32 v44, v69, v51
	v_add_f16_e32 v44, v44, v45
	;; [unrolled: 1-line block ×5, first 2 shown]
	v_fma_f16 v44, v44, -0.5, v69
	v_sub_f16_e32 v47, v67, v61
	v_fma_f16 v55, v47, s5, v44
	v_sub_f16_e32 v56, v71, v72
	v_sub_f16_e32 v57, v51, v45
	;; [unrolled: 1-line block ×3, first 2 shown]
	v_fma_f16 v44, v47, s7, v44
	v_add_f16_e32 v57, v57, v58
	v_fma_f16 v44, v56, s8, v44
	v_fma_f16 v55, v56, s4, v55
	;; [unrolled: 1-line block ×3, first 2 shown]
	v_add_f16_e32 v44, v51, v54
	v_fma_f16 v63, v57, s6, v55
	v_fma_f16 v44, v44, -0.5, v69
	v_sub_f16_e32 v55, v45, v51
	v_sub_f16_e32 v57, v48, v54
	v_add_f16_e32 v55, v55, v57
	v_fma_f16 v57, v56, s7, v44
	v_fma_f16 v44, v56, s5, v44
	;; [unrolled: 1-line block ×4, first 2 shown]
	v_add_f16_e32 v44, v28, v67
	v_add_f16_e32 v44, v44, v71
	;; [unrolled: 1-line block ×5, first 2 shown]
	v_fma_f16 v57, v47, s4, v57
	v_fma_f16 v44, v44, -0.5, v28
	v_sub_f16_e32 v47, v51, v54
	v_fma_f16 v51, v47, s7, v44
	v_sub_f16_e32 v45, v45, v48
	v_fma_f16 v48, v45, s8, v51
	v_sub_f16_e32 v51, v67, v71
	v_sub_f16_e32 v54, v61, v72
	v_fma_f16 v44, v47, s5, v44
	v_add_f16_e32 v51, v51, v54
	v_fma_f16 v44, v45, s4, v44
	v_fma_f16 v70, v51, s6, v44
	v_add_f16_e32 v44, v67, v61
	v_fma_f16 v28, v44, -0.5, v28
	v_fma_f16 v69, v51, s6, v48
	v_fma_f16 v44, v45, s5, v28
	v_sub_f16_e32 v48, v71, v67
	v_sub_f16_e32 v51, v72, v61
	v_fma_f16 v28, v45, s7, v28
	v_add_f16_e32 v48, v48, v51
	v_fma_f16 v28, v47, s4, v28
	v_fma_f16 v44, v47, s8, v44
	;; [unrolled: 1-line block ×3, first 2 shown]
	v_add_f16_e32 v28, v41, v39
	v_fma_f16 v71, v48, s6, v44
	v_fma_f16 v28, v28, -0.5, v11
	v_sub_f16_e32 v44, v84, v85
	v_fma_f16 v45, v44, s5, v28
	v_sub_f16_e32 v47, v31, v49
	v_sub_f16_e32 v48, v37, v41
	;; [unrolled: 1-line block ×3, first 2 shown]
	v_fma_f16 v28, v44, s7, v28
	v_add_f16_e32 v48, v48, v51
	v_fma_f16 v28, v47, s8, v28
	v_fma_f16 v65, v55, s6, v57
	;; [unrolled: 1-line block ×3, first 2 shown]
	v_add_f16_e32 v28, v37, v40
	v_fma_f16 v45, v47, s4, v45
	v_fma_f16 v28, v28, -0.5, v11
	v_add_f16_e32 v11, v11, v37
	v_fma_f16 v61, v48, s6, v45
	v_sub_f16_e32 v45, v41, v37
	v_sub_f16_e32 v48, v39, v40
	v_add_f16_e32 v11, v11, v41
	v_add_f16_e32 v45, v45, v48
	v_fma_f16 v48, v47, s7, v28
	v_add_f16_e32 v11, v11, v39
	v_fma_f16 v28, v47, s5, v28
	;; [unrolled: 2-line block ×3, first 2 shown]
	v_fma_f16 v58, v45, s6, v11
	v_fma_f16 v11, v44, s8, v28
	;; [unrolled: 1-line block ×3, first 2 shown]
	v_add_f16_e32 v11, v17, v84
	v_add_f16_e32 v11, v11, v31
	;; [unrolled: 1-line block ×5, first 2 shown]
	v_fma_f16 v11, v11, -0.5, v17
	v_sub_f16_e32 v28, v37, v40
	v_sub_f16_e32 v37, v41, v39
	;; [unrolled: 1-line block ×4, first 2 shown]
	v_add_f16_e32 v39, v39, v40
	v_fma_f16 v40, v28, s7, v11
	v_fma_f16 v11, v28, s5, v11
	;; [unrolled: 1-line block ×4, first 2 shown]
	v_add_f16_e32 v11, v84, v85
	v_fma_f16 v40, v37, s8, v40
	v_fma_f16 v11, v11, -0.5, v17
	v_fma_f16 v67, v39, s6, v40
	v_fma_f16 v17, v37, s5, v11
	v_sub_f16_e32 v31, v31, v84
	v_sub_f16_e32 v39, v49, v85
	v_fma_f16 v11, v37, s7, v11
	v_add_f16_e32 v31, v31, v39
	v_fma_f16 v11, v28, s4, v11
	v_fma_f16 v59, v31, s6, v11
	v_add_f16_e32 v11, v12, v86
	v_add_f16_e32 v11, v11, v88
	;; [unrolled: 1-line block ×3, first 2 shown]
	v_fma_f16 v17, v28, s8, v17
	v_add_f16_e32 v37, v11, v91
	v_add_f16_e32 v11, v88, v90
	v_fma_f16 v60, v31, s6, v17
	v_fma_f16 v11, v11, -0.5, v12
	v_sub_f16_e32 v17, v87, v53
	v_fma_f16 v28, v17, s5, v11
	v_sub_f16_e32 v31, v86, v88
	v_sub_f16_e32 v39, v91, v90
	;; [unrolled: 1-line block ×3, first 2 shown]
	v_fma_f16 v11, v17, s7, v11
	v_add_f16_e32 v31, v31, v39
	v_fma_f16 v11, v41, s8, v11
	v_fma_f16 v28, v41, s4, v28
	;; [unrolled: 1-line block ×3, first 2 shown]
	v_add_f16_e32 v11, v86, v91
	v_fma_f16 v39, v31, s6, v28
	v_fma_f16 v11, v11, -0.5, v12
	v_sub_f16_e32 v12, v88, v86
	v_sub_f16_e32 v28, v90, v91
	v_add_f16_e32 v12, v12, v28
	v_fma_f16 v28, v41, s7, v11
	v_fma_f16 v11, v41, s5, v11
	;; [unrolled: 1-line block ×4, first 2 shown]
	v_add_f16_e32 v11, v14, v87
	v_add_f16_e32 v11, v11, v89
	;; [unrolled: 1-line block ×3, first 2 shown]
	v_fma_f16 v28, v17, s4, v28
	v_add_f16_e32 v47, v11, v53
	v_add_f16_e32 v11, v89, v52
	v_fma_f16 v44, v12, s6, v28
	v_fma_f16 v11, v11, -0.5, v14
	v_sub_f16_e32 v12, v86, v91
	v_fma_f16 v17, v12, s7, v11
	v_sub_f16_e32 v28, v88, v90
	v_sub_f16_e32 v31, v87, v89
	v_sub_f16_e32 v41, v53, v52
	v_fma_f16 v11, v12, s5, v11
	v_add_f16_e32 v31, v31, v41
	v_fma_f16 v11, v28, s4, v11
	v_fma_f16 v49, v31, s6, v11
	v_add_f16_e32 v11, v87, v53
	v_fma_f16 v17, v28, s8, v17
	v_fma_f16 v11, v11, -0.5, v14
	v_fma_f16 v48, v31, s6, v17
	v_fma_f16 v14, v28, s5, v11
	v_sub_f16_e32 v17, v89, v87
	v_sub_f16_e32 v31, v52, v53
	v_fma_f16 v11, v28, s7, v11
	v_add_f16_e32 v17, v17, v31
	v_fma_f16 v11, v12, s4, v11
	v_fma_f16 v52, v17, s6, v11
	v_add_f16_e32 v11, v29, v43
	v_fma_f16 v14, v12, s8, v14
	v_fma_f16 v11, v11, -0.5, v9
	v_sub_f16_e32 v12, v19, v42
	v_fma_f16 v51, v17, s6, v14
	v_fma_f16 v14, v12, s5, v11
	v_sub_f16_e32 v17, v23, v38
	v_sub_f16_e32 v28, v24, v29
	;; [unrolled: 1-line block ×3, first 2 shown]
	v_fma_f16 v11, v12, s7, v11
	v_fma_f16 v14, v17, s4, v14
	v_add_f16_e32 v28, v28, v31
	v_fma_f16 v11, v17, s8, v11
	v_fma_f16 v41, v28, s6, v14
	;; [unrolled: 1-line block ×3, first 2 shown]
	v_add_f16_e32 v11, v24, v50
	v_lshrrev_b32_e32 v46, 16, v9
	v_fma_f16 v11, v11, -0.5, v9
	v_add_f16_e32 v9, v9, v24
	v_sub_f16_e32 v28, v29, v24
	v_sub_f16_e32 v31, v43, v50
	v_add_f16_e32 v9, v9, v29
	v_add_f16_e32 v28, v28, v31
	v_fma_f16 v31, v17, s7, v11
	v_add_f16_e32 v9, v9, v43
	v_fma_f16 v11, v17, s5, v11
	;; [unrolled: 2-line block ×3, first 2 shown]
	v_fma_f16 v31, v28, s6, v9
	v_fma_f16 v9, v12, s8, v11
	;; [unrolled: 1-line block ×3, first 2 shown]
	v_add_f16_e32 v9, v46, v19
	v_add_f16_e32 v9, v9, v23
	v_add_f16_e32 v9, v9, v38
	v_add_f16_e32 v54, v9, v42
	v_add_f16_e32 v9, v23, v38
	v_fma_f16 v9, v9, -0.5, v46
	v_sub_f16_e32 v11, v24, v50
	v_sub_f16_e32 v17, v19, v23
	v_sub_f16_e32 v24, v42, v38
	v_sub_f16_e32 v12, v29, v43
	v_add_f16_e32 v17, v17, v24
	v_fma_f16 v24, v11, s7, v9
	v_fma_f16 v9, v11, s5, v9
	;; [unrolled: 1-line block ×4, first 2 shown]
	v_add_f16_e32 v9, v19, v42
	v_fma_f16 v24, v12, s8, v24
	v_fma_f16 v9, v9, -0.5, v46
	v_fma_f16 v50, v17, s6, v24
	v_fma_f16 v17, v12, s5, v9
	v_sub_f16_e32 v19, v23, v19
	v_sub_f16_e32 v23, v38, v42
	v_fma_f16 v9, v12, s7, v9
	v_add_f16_e32 v19, v19, v23
	v_fma_f16 v9, v11, s4, v9
	v_fma_f16 v43, v19, s6, v9
	v_add_f16_e32 v9, v10, v21
	v_add_f16_e32 v9, v9, v27
	;; [unrolled: 1-line block ×3, first 2 shown]
	v_fma_f16 v17, v11, s8, v17
	v_add_f16_e32 v24, v9, v32
	v_add_f16_e32 v9, v27, v30
	v_fma_f16 v46, v19, s6, v17
	v_fma_f16 v9, v9, -0.5, v10
	v_sub_f16_e32 v11, v15, v20
	v_sub_f16_e32 v17, v21, v27
	;; [unrolled: 1-line block ×3, first 2 shown]
	v_fma_f16 v12, v11, s5, v9
	v_add_f16_e32 v17, v17, v19
	v_sub_f16_e32 v19, v16, v18
	v_fma_f16 v9, v11, s7, v9
	v_fma_f16 v12, v19, s4, v12
	;; [unrolled: 1-line block ×5, first 2 shown]
	v_add_f16_e32 v9, v21, v32
	v_lshrrev_b32_e32 v79, 16, v10
	v_fma_f16 v9, v9, -0.5, v10
	v_sub_f16_e32 v10, v27, v21
	v_sub_f16_e32 v17, v30, v32
	v_add_f16_e32 v10, v10, v17
	v_fma_f16 v17, v19, s7, v9
	v_fma_f16 v9, v19, s5, v9
	;; [unrolled: 1-line block ×4, first 2 shown]
	v_add_f16_e32 v9, v79, v15
	v_add_f16_e32 v9, v9, v16
	;; [unrolled: 1-line block ×3, first 2 shown]
	v_fma_f16 v17, v11, s4, v17
	v_add_f16_e32 v42, v9, v20
	v_add_f16_e32 v9, v16, v18
	v_fma_f16 v17, v10, s6, v17
	v_fma_f16 v9, v9, -0.5, v79
	v_sub_f16_e32 v10, v21, v32
	v_fma_f16 v11, v10, s7, v9
	v_sub_f16_e32 v27, v27, v30
	v_sub_f16_e32 v21, v15, v16
	v_sub_f16_e32 v30, v20, v18
	v_fma_f16 v9, v10, s5, v9
	v_fma_f16 v11, v27, s8, v11
	v_add_f16_e32 v21, v21, v30
	v_fma_f16 v9, v27, s4, v9
	v_fma_f16 v38, v21, s6, v11
	;; [unrolled: 1-line block ×3, first 2 shown]
	v_add_f16_e32 v9, v15, v20
	v_fma_f16 v9, v9, -0.5, v79
	v_fma_f16 v11, v27, s5, v9
	v_sub_f16_e32 v15, v16, v15
	v_sub_f16_e32 v16, v18, v20
	v_fma_f16 v9, v27, s7, v9
	v_fma_f16 v11, v10, s8, v11
	v_add_f16_e32 v15, v15, v16
	v_fma_f16 v9, v10, s4, v9
	v_add_f16_e32 v10, v80, v81
	v_fma_f16 v30, v15, s6, v11
	v_fma_f16 v32, v15, s6, v9
	v_fma_f16 v10, v10, -0.5, v4
	v_sub_f16_e32 v15, v75, v82
	v_fma_f16 v11, v15, s5, v10
	v_sub_f16_e32 v16, v76, v77
	v_sub_f16_e32 v18, v78, v80
	;; [unrolled: 1-line block ×3, first 2 shown]
	v_fma_f16 v10, v15, s7, v10
	v_fma_f16 v11, v16, s4, v11
	v_add_f16_e32 v18, v18, v20
	v_fma_f16 v10, v16, s8, v10
	v_fma_f16 v11, v18, s6, v11
	;; [unrolled: 1-line block ×3, first 2 shown]
	v_add_f16_e32 v18, v78, v83
	v_fma_f16 v18, v18, -0.5, v4
	v_lshrrev_b32_e32 v22, 16, v4
	v_add_f16_e32 v9, v4, v78
	v_fma_f16 v4, v16, s7, v18
	v_sub_f16_e32 v20, v80, v78
	v_sub_f16_e32 v27, v81, v83
	v_fma_f16 v16, v16, s5, v18
	v_add_f16_e32 v18, v76, v77
	v_fma_f16 v4, v15, s4, v4
	v_add_f16_e32 v20, v20, v27
	v_fma_f16 v15, v15, s8, v16
	v_fma_f16 v18, v18, -0.5, v22
	v_sub_f16_e32 v27, v78, v83
	v_add_f16_e32 v9, v9, v80
	v_fma_f16 v4, v20, s6, v4
	v_fma_f16 v15, v20, s6, v15
	;; [unrolled: 1-line block ×3, first 2 shown]
	v_sub_f16_e32 v78, v80, v81
	v_sub_f16_e32 v79, v75, v76
	;; [unrolled: 1-line block ×3, first 2 shown]
	v_fma_f16 v18, v27, s5, v18
	v_fma_f16 v20, v78, s8, v20
	v_add_f16_e32 v79, v79, v80
	v_fma_f16 v18, v78, s4, v18
	v_add_f16_e32 v16, v22, v75
	v_fma_f16 v20, v79, s6, v20
	v_fma_f16 v18, v79, s6, v18
	v_add_f16_e32 v79, v75, v82
	v_add_f16_e32 v16, v16, v76
	v_fma_f16 v79, v79, -0.5, v22
	v_sub_f16_e32 v75, v76, v75
	v_sub_f16_e32 v76, v77, v82
	v_add_f16_e32 v9, v9, v81
	v_add_f16_e32 v16, v16, v77
	v_fma_f16 v22, v78, s5, v79
	v_add_f16_e32 v75, v75, v76
	v_fma_f16 v76, v78, s7, v79
	v_add_f16_e32 v9, v9, v83
	v_add_f16_e32 v16, v16, v82
	v_fma_f16 v22, v27, s8, v22
	v_fma_f16 v27, v27, s4, v76
	v_pack_b32_f16 v37, v37, v47
	v_pack_b32_f16 v40, v40, v49
	;; [unrolled: 1-line block ×4, first 2 shown]
	v_fma_f16 v22, v75, s6, v22
	v_fma_f16 v27, v75, s6, v27
	v_pack_b32_f16 v62, v62, v68
	v_pack_b32_f16 v63, v63, v69
	v_pack_b32_f16 v65, v65, v71
	v_pack_b32_f16 v66, v66, v72
	v_pack_b32_f16 v64, v64, v70
	v_pack_b32_f16 v68, v73, v74
	v_pack_b32_f16 v61, v61, v67
	v_pack_b32_f16 v58, v58, v60
	v_pack_b32_f16 v57, v57, v59
	v_pack_b32_f16 v55, v55, v56
	v_pack_b32_f16 v39, v39, v48
	v_pack_b32_f16 v44, v44, v51
	v_pack_b32_f16 v45, v45, v52
	ds_write2_b32 v33, v37, v47 offset0:50 offset1:55
	v_pack_b32_f16 v37, v41, v50
	v_pack_b32_f16 v31, v31, v46
	;; [unrolled: 1-line block ×3, first 2 shown]
	ds_write2_b32 v33, v40, v14 offset0:90 offset1:95
	v_add3_u32 v13, 0, v13, v25
	v_pack_b32_f16 v14, v24, v42
	v_pack_b32_f16 v23, v23, v38
	v_add3_u32 v5, 0, v5, v25
	v_pack_b32_f16 v9, v9, v16
	v_pack_b32_f16 v11, v11, v20
	ds_write2_b32 v33, v62, v68 offset1:5
	ds_write2_b32 v33, v63, v61 offset0:10 offset1:15
	ds_write2_b32 v33, v65, v58 offset0:20 offset1:25
	;; [unrolled: 1-line block ×8, first 2 shown]
	v_pack_b32_f16 v14, v17, v30
	v_pack_b32_f16 v17, v19, v32
	ds_write2_b32 v5, v9, v11 offset0:100 offset1:110
	v_pack_b32_f16 v4, v4, v22
	v_pack_b32_f16 v9, v15, v27
	ds_write2_b32 v13, v14, v17 offset0:120 offset1:130
	v_pack_b32_f16 v12, v12, v21
	ds_write2_b32 v5, v4, v9 offset0:120 offset1:130
	v_pack_b32_f16 v4, v10, v18
	ds_write_b32 v13, v12 offset:560
	ds_write_b32 v5, v4 offset:560
	v_lshlrev_b32_e32 v5, 1, v3
	v_lshlrev_b64 v[55:56], 2, v[5:6]
	v_mov_b32_e32 v57, s13
	v_add_co_u32_e64 v55, s[0:1], s12, v55
	v_addc_co_u32_e64 v56, s[0:1], v57, v56, s[0:1]
	v_lshlrev_b32_e32 v57, 1, v36
	v_mov_b32_e32 v58, v6
	v_lshlrev_b64 v[57:58], 2, v[57:58]
	v_mov_b32_e32 v36, s13
	v_add_co_u32_e64 v57, s[0:1], s12, v57
	s_waitcnt lgkmcnt(0)
	; wave barrier
	s_waitcnt lgkmcnt(0)
	ds_read_b32 v38, v26
	ds_read_u16 v45, v33 offset:222
	ds_read_b32 v44, v33 offset:580
	ds_read2_b32 v[17:18], v33 offset0:5 offset1:10
	ds_read2_b32 v[9:10], v33 offset0:45 offset1:50
	ds_read2_b32 v[29:30], v33 offset0:105 offset1:110
	ds_read2_b32 v[19:20], v33 offset0:95 offset1:100
	ds_read2_b32 v[15:16], v33 offset0:15 offset1:20
	ds_read2_b32 v[31:32], v33 offset0:55 offset1:60
	ds_read2_b32 v[27:28], v33 offset0:65 offset1:70
	ds_read2_b32 v[25:26], v33 offset0:115 offset1:120
	ds_read2_b32 v[13:14], v33 offset0:25 offset1:30
	ds_read2_b32 v[23:24], v33 offset0:75 offset1:80
	ds_read2_b32 v[21:22], v33 offset0:125 offset1:130
	ds_read2_b32 v[11:12], v33 offset0:35 offset1:40
	v_addc_co_u32_e64 v58, s[0:1], v36, v58, s[0:1]
	global_load_dwordx2 v[59:60], v[55:56], off offset:160
	global_load_dwordx2 v[61:62], v[57:58], off offset:160
	v_add_u32_e32 v55, 20, v5
	v_mov_b32_e32 v56, v6
	v_lshlrev_b64 v[55:56], 2, v[55:56]
	v_add_u32_e32 v65, 30, v5
	v_add_co_u32_e64 v55, s[0:1], s12, v55
	v_addc_co_u32_e64 v56, s[0:1], v36, v56, s[0:1]
	v_mov_b32_e32 v66, v6
	global_load_dwordx2 v[55:56], v[55:56], off offset:160
	v_lshlrev_b64 v[65:66], 2, v[65:66]
	v_mov_b32_e32 v67, s13
	v_add_co_u32_e64 v65, s[0:1], s12, v65
	v_addc_co_u32_e64 v66, s[0:1], v67, v66, s[0:1]
	v_lshlrev_b32_e32 v67, 1, v34
	v_mov_b32_e32 v68, v6
	v_lshlrev_b64 v[67:68], 2, v[67:68]
	v_mov_b32_e32 v34, s13
	v_add_co_u32_e64 v67, s[0:1], s12, v67
	v_addc_co_u32_e64 v68, s[0:1], v34, v68, s[0:1]
	v_lshlrev_b32_e32 v34, 1, v35
	v_mov_b32_e32 v35, v6
	ds_read2_b32 v[57:58], v33 offset0:85 offset1:90
	ds_read2_b32 v[63:64], v33 offset0:135 offset1:140
	global_load_dwordx2 v[65:66], v[65:66], off offset:160
	v_lshlrev_b64 v[34:35], 2, v[34:35]
	global_load_dwordx2 v[67:68], v[67:68], off offset:160
	v_mov_b32_e32 v69, s13
	v_add_co_u32_e64 v34, s[0:1], s12, v34
	v_addc_co_u32_e64 v35, s[0:1], v69, v35, s[0:1]
	v_add_u32_e32 v69, 60, v5
	v_mov_b32_e32 v70, v6
	v_lshlrev_b64 v[69:70], 2, v[69:70]
	v_mov_b32_e32 v71, s13
	v_add_co_u32_e64 v69, s[0:1], s12, v69
	v_addc_co_u32_e64 v70, s[0:1], v71, v70, s[0:1]
	global_load_dwordx2 v[69:70], v[69:70], off offset:160
	v_add_u32_e32 v71, 0x46, v5
	global_load_dwordx2 v[34:35], v[34:35], off offset:160
	v_mov_b32_e32 v72, v6
	v_lshlrev_b64 v[71:72], 2, v[71:72]
	v_mov_b32_e32 v73, s13
	v_add_co_u32_e64 v71, s[0:1], s12, v71
	v_addc_co_u32_e64 v72, s[0:1], v73, v72, s[0:1]
	v_or_b32_e32 v73, 0x50, v5
	v_mov_b32_e32 v74, v6
	global_load_dwordx2 v[71:72], v[71:72], off offset:160
	v_lshlrev_b64 v[73:74], 2, v[73:74]
	v_mov_b32_e32 v75, s13
	v_add_co_u32_e64 v73, s[0:1], s12, v73
	v_addc_co_u32_e64 v74, s[0:1], v75, v74, s[0:1]
	global_load_dwordx2 v[73:74], v[73:74], off offset:160
	v_add_u32_e32 v5, 0x5a, v5
	v_lshlrev_b64 v[75:76], 2, v[5:6]
	v_mov_b32_e32 v5, s13
	v_add_co_u32_e64 v75, s[0:1], s12, v75
	v_addc_co_u32_e64 v76, s[0:1], v5, v76, s[0:1]
	global_load_dwordx2 v[75:76], v[75:76], off offset:160
	s_waitcnt lgkmcnt(8)
	v_lshrrev_b32_e32 v53, 16, v32
	v_lshrrev_b32_e32 v52, 16, v30
	s_waitcnt lgkmcnt(7)
	v_lshrrev_b32_e32 v51, 16, v27
	s_waitcnt lgkmcnt(6)
	v_lshrrev_b32_e32 v50, 16, v25
	v_lshrrev_b32_e32 v49, 16, v28
	;; [unrolled: 1-line block ×3, first 2 shown]
	s_waitcnt lgkmcnt(4)
	v_lshrrev_b32_e32 v47, 16, v23
	s_waitcnt lgkmcnt(3)
	v_lshrrev_b32_e32 v46, 16, v21
	s_waitcnt vmcnt(8)
	v_mul_f16_sdwa v5, v45, v61 dst_sel:DWORD dst_unused:UNUSED_PAD src0_sel:DWORD src1_sel:WORD_1
	v_fma_f16 v5, v61, v31, -v5
	v_mul_f16_sdwa v31, v61, v31 dst_sel:DWORD dst_unused:UNUSED_PAD src0_sel:WORD_1 src1_sel:DWORD
	v_fma_f16 v31, v45, v61, v31
	v_lshrrev_b32_e32 v77, 16, v24
	v_lshrrev_b32_e32 v78, 16, v22
	s_waitcnt lgkmcnt(1)
	v_lshrrev_b32_e32 v79, 16, v57
	v_lshrrev_b32_e32 v54, 16, v29
	s_waitcnt lgkmcnt(0)
	v_lshrrev_b32_e32 v80, 16, v63
	v_mul_f16_sdwa v45, v29, v62 dst_sel:DWORD dst_unused:UNUSED_PAD src0_sel:DWORD src1_sel:WORD_1
	s_waitcnt vmcnt(7)
	v_mul_f16_sdwa v61, v53, v55 dst_sel:DWORD dst_unused:UNUSED_PAD src0_sel:DWORD src1_sel:WORD_1
	v_fma_f16 v61, v32, v55, -v61
	v_mul_f16_sdwa v32, v32, v55 dst_sel:DWORD dst_unused:UNUSED_PAD src0_sel:DWORD src1_sel:WORD_1
	v_fma_f16 v32, v53, v55, v32
	v_mul_f16_sdwa v53, v52, v56 dst_sel:DWORD dst_unused:UNUSED_PAD src0_sel:DWORD src1_sel:WORD_1
	v_fma_f16 v53, v30, v56, -v53
	v_mul_f16_sdwa v30, v30, v56 dst_sel:DWORD dst_unused:UNUSED_PAD src0_sel:DWORD src1_sel:WORD_1
	v_lshrrev_b32_e32 v55, 16, v10
	v_fma_f16 v30, v52, v56, v30
	v_mul_f16_sdwa v52, v59, v55 dst_sel:DWORD dst_unused:UNUSED_PAD src0_sel:WORD_1 src1_sel:DWORD
	v_fma_f16 v52, v59, v10, -v52
	v_mul_f16_sdwa v10, v59, v10 dst_sel:DWORD dst_unused:UNUSED_PAD src0_sel:WORD_1 src1_sel:DWORD
	v_fma_f16 v10, v59, v55, v10
	v_lshrrev_b32_e32 v55, 16, v20
	v_mul_f16_sdwa v56, v60, v20 dst_sel:DWORD dst_unused:UNUSED_PAD src0_sel:WORD_1 src1_sel:DWORD
	v_fma_f16 v56, v60, v55, v56
	v_mul_f16_sdwa v55, v60, v55 dst_sel:DWORD dst_unused:UNUSED_PAD src0_sel:WORD_1 src1_sel:DWORD
	v_fma_f16 v20, v60, v20, -v55
	s_waitcnt vmcnt(6)
	v_mul_f16_sdwa v55, v51, v65 dst_sel:DWORD dst_unused:UNUSED_PAD src0_sel:DWORD src1_sel:WORD_1
	v_fma_f16 v60, v27, v65, -v55
	v_mul_f16_sdwa v27, v27, v65 dst_sel:DWORD dst_unused:UNUSED_PAD src0_sel:DWORD src1_sel:WORD_1
	v_fma_f16 v27, v51, v65, v27
	v_mul_f16_sdwa v51, v25, v66 dst_sel:DWORD dst_unused:UNUSED_PAD src0_sel:DWORD src1_sel:WORD_1
	v_fma_f16 v65, v50, v66, v51
	v_mul_f16_sdwa v50, v50, v66 dst_sel:DWORD dst_unused:UNUSED_PAD src0_sel:DWORD src1_sel:WORD_1
	v_fma_f16 v25, v25, v66, -v50
	s_waitcnt vmcnt(5)
	v_mul_f16_sdwa v50, v49, v67 dst_sel:DWORD dst_unused:UNUSED_PAD src0_sel:DWORD src1_sel:WORD_1
	v_fma_f16 v82, v28, v67, -v50
	v_mul_f16_sdwa v28, v28, v67 dst_sel:DWORD dst_unused:UNUSED_PAD src0_sel:DWORD src1_sel:WORD_1
	v_fma_f16 v28, v49, v67, v28
	v_mul_f16_sdwa v49, v48, v68 dst_sel:DWORD dst_unused:UNUSED_PAD src0_sel:DWORD src1_sel:WORD_1
	v_fma_f16 v67, v26, v68, -v49
	v_mul_f16_sdwa v26, v26, v68 dst_sel:DWORD dst_unused:UNUSED_PAD src0_sel:DWORD src1_sel:WORD_1
	v_fma_f16 v26, v48, v68, v26
	v_fma_f16 v45, v54, v62, v45
	v_mul_f16_sdwa v54, v54, v62 dst_sel:DWORD dst_unused:UNUSED_PAD src0_sel:DWORD src1_sel:WORD_1
	s_waitcnt vmcnt(3)
	v_mul_f16_sdwa v48, v47, v34 dst_sel:DWORD dst_unused:UNUSED_PAD src0_sel:DWORD src1_sel:WORD_1
	v_fma_f16 v68, v23, v34, -v48
	v_mul_f16_sdwa v23, v23, v34 dst_sel:DWORD dst_unused:UNUSED_PAD src0_sel:DWORD src1_sel:WORD_1
	v_fma_f16 v34, v47, v34, v23
	v_mul_f16_sdwa v23, v46, v35 dst_sel:DWORD dst_unused:UNUSED_PAD src0_sel:DWORD src1_sel:WORD_1
	v_fma_f16 v83, v21, v35, -v23
	v_mul_f16_sdwa v23, v77, v69 dst_sel:DWORD dst_unused:UNUSED_PAD src0_sel:DWORD src1_sel:WORD_1
	v_fma_f16 v84, v24, v69, -v23
	v_mul_f16_sdwa v23, v24, v69 dst_sel:DWORD dst_unused:UNUSED_PAD src0_sel:DWORD src1_sel:WORD_1
	v_fma_f16 v69, v77, v69, v23
	v_mul_f16_sdwa v23, v78, v70 dst_sel:DWORD dst_unused:UNUSED_PAD src0_sel:DWORD src1_sel:WORD_1
	v_fma_f16 v77, v22, v70, -v23
	v_mul_f16_sdwa v22, v22, v70 dst_sel:DWORD dst_unused:UNUSED_PAD src0_sel:DWORD src1_sel:WORD_1
	s_waitcnt vmcnt(2)
	v_mul_f16_sdwa v23, v79, v71 dst_sel:DWORD dst_unused:UNUSED_PAD src0_sel:DWORD src1_sel:WORD_1
	v_fma_f16 v22, v78, v70, v22
	v_fma_f16 v70, v57, v71, -v23
	v_mul_f16_sdwa v23, v57, v71 dst_sel:DWORD dst_unused:UNUSED_PAD src0_sel:DWORD src1_sel:WORD_1
	v_fma_f16 v71, v79, v71, v23
	v_mul_f16_sdwa v23, v80, v72 dst_sel:DWORD dst_unused:UNUSED_PAD src0_sel:DWORD src1_sel:WORD_1
	v_fma_f16 v29, v29, v62, -v54
	v_lshrrev_b32_e32 v54, 16, v58
	v_fma_f16 v78, v63, v72, -v23
	v_mul_f16_sdwa v23, v63, v72 dst_sel:DWORD dst_unused:UNUSED_PAD src0_sel:DWORD src1_sel:WORD_1
	v_fma_f16 v63, v80, v72, v23
	s_waitcnt vmcnt(1)
	v_mul_f16_sdwa v23, v54, v73 dst_sel:DWORD dst_unused:UNUSED_PAD src0_sel:DWORD src1_sel:WORD_1
	v_lshrrev_b32_e32 v62, 16, v64
	v_fma_f16 v72, v58, v73, -v23
	v_mul_f16_sdwa v23, v58, v73 dst_sel:DWORD dst_unused:UNUSED_PAD src0_sel:DWORD src1_sel:WORD_1
	v_fma_f16 v73, v54, v73, v23
	v_mul_f16_sdwa v23, v62, v74 dst_sel:DWORD dst_unused:UNUSED_PAD src0_sel:DWORD src1_sel:WORD_1
	v_lshrrev_b32_e32 v50, 16, v19
	v_fma_f16 v79, v64, v74, -v23
	v_mul_f16_sdwa v23, v64, v74 dst_sel:DWORD dst_unused:UNUSED_PAD src0_sel:DWORD src1_sel:WORD_1
	v_lshrrev_b32_e32 v49, 16, v44
	v_fma_f16 v62, v62, v74, v23
	s_waitcnt vmcnt(0)
	v_mul_f16_sdwa v23, v50, v75 dst_sel:DWORD dst_unused:UNUSED_PAD src0_sel:DWORD src1_sel:WORD_1
	v_fma_f16 v64, v19, v75, -v23
	v_mul_f16_sdwa v23, v49, v76 dst_sel:DWORD dst_unused:UNUSED_PAD src0_sel:DWORD src1_sel:WORD_1
	v_mul_f16_sdwa v19, v19, v75 dst_sel:DWORD dst_unused:UNUSED_PAD src0_sel:DWORD src1_sel:WORD_1
	v_fma_f16 v74, v44, v76, -v23
	v_mul_f16_sdwa v23, v44, v76 dst_sel:DWORD dst_unused:UNUSED_PAD src0_sel:DWORD src1_sel:WORD_1
	v_fma_f16 v19, v50, v75, v19
	v_fma_f16 v75, v49, v76, v23
	v_add_f16_e32 v23, v38, v52
	v_add_f16_e32 v76, v23, v20
	;; [unrolled: 1-line block ×3, first 2 shown]
	v_lshrrev_b32_e32 v43, 16, v38
	v_fma_f16 v23, v23, -0.5, v38
	v_sub_f16_e32 v24, v10, v56
	s_movk_i32 s0, 0x3aee
	s_mov_b32 s1, 0xbaee
	v_fma_f16 v80, v24, s0, v23
	v_fma_f16 v85, v24, s1, v23
	v_add_f16_e32 v23, v43, v10
	v_add_f16_e32 v10, v10, v56
	v_fma_f16 v10, v10, -0.5, v43
	v_sub_f16_e32 v20, v52, v20
	v_fma_f16 v87, v20, s1, v10
	v_fma_f16 v88, v20, s0, v10
	v_add_f16_e32 v10, v17, v5
	v_add_f16_e32 v89, v10, v29
	v_add_f16_e32 v10, v5, v29
	v_lshrrev_b32_e32 v42, 16, v17
	v_fma_f16 v10, v10, -0.5, v17
	v_sub_f16_e32 v17, v31, v45
	v_fma_f16 v90, v17, s0, v10
	v_fma_f16 v58, v17, s1, v10
	v_add_f16_e32 v10, v42, v31
	v_add_f16_e32 v91, v10, v45
	;; [unrolled: 1-line block ×3, first 2 shown]
	v_fma_f16 v10, v10, -0.5, v42
	v_sub_f16_e32 v5, v5, v29
	v_fma_f16 v92, v5, s1, v10
	v_fma_f16 v59, v5, s0, v10
	v_add_f16_e32 v5, v18, v61
	v_add_f16_e32 v50, v5, v53
	;; [unrolled: 1-line block ×3, first 2 shown]
	v_lshrrev_b32_e32 v41, 16, v18
	v_fma_f16 v5, v5, -0.5, v18
	v_sub_f16_e32 v10, v32, v30
	v_fma_f16 v51, v10, s0, v5
	v_fma_f16 v52, v10, s1, v5
	v_add_f16_e32 v5, v41, v32
	v_add_f16_e32 v54, v5, v30
	v_add_f16_e32 v5, v32, v30
	v_fma_f16 v5, v5, -0.5, v41
	v_sub_f16_e32 v10, v61, v53
	v_add_f16_e32 v86, v23, v56
	v_fma_f16 v55, v10, s1, v5
	v_fma_f16 v56, v10, s0, v5
	v_add_f16_e32 v5, v15, v60
	v_add_f16_e32 v53, v5, v25
	;; [unrolled: 1-line block ×3, first 2 shown]
	v_lshrrev_b32_e32 v40, 16, v15
	v_fma_f16 v5, v5, -0.5, v15
	v_sub_f16_e32 v10, v27, v65
	v_fma_f16 v43, v10, s0, v5
	v_fma_f16 v38, v10, s1, v5
	v_add_f16_e32 v5, v40, v27
	v_add_f16_e32 v57, v5, v65
	v_add_f16_e32 v5, v27, v65
	v_fma_f16 v5, v5, -0.5, v40
	v_sub_f16_e32 v10, v60, v25
	v_fma_f16 v49, v10, s1, v5
	v_fma_f16 v44, v10, s0, v5
	v_add_f16_e32 v5, v16, v82
	v_add_f16_e32 v40, v5, v67
	;; [unrolled: 1-line block ×3, first 2 shown]
	v_lshrrev_b32_e32 v39, 16, v16
	v_fma_f16 v5, v5, -0.5, v16
	v_sub_f16_e32 v10, v28, v26
	v_fma_f16 v41, v10, s0, v5
	v_fma_f16 v42, v10, s1, v5
	v_add_f16_e32 v5, v39, v28
	v_add_f16_e32 v45, v5, v26
	;; [unrolled: 1-line block ×3, first 2 shown]
	v_mul_f16_sdwa v21, v21, v35 dst_sel:DWORD dst_unused:UNUSED_PAD src0_sel:DWORD src1_sel:WORD_1
	v_fma_f16 v5, v5, -0.5, v39
	v_sub_f16_e32 v10, v82, v67
	v_fma_f16 v21, v46, v35, v21
	v_fma_f16 v46, v10, s1, v5
	v_fma_f16 v47, v10, s0, v5
	v_add_f16_e32 v5, v13, v68
	v_add_f16_e32 v39, v5, v83
	v_add_f16_e32 v5, v68, v83
	v_lshrrev_b32_e32 v37, 16, v13
	v_fma_f16 v5, v5, -0.5, v13
	v_sub_f16_e32 v10, v34, v21
	v_fma_f16 v28, v10, s0, v5
	v_fma_f16 v23, v10, s1, v5
	v_add_f16_e32 v5, v37, v34
	v_add_f16_e32 v48, v5, v21
	;; [unrolled: 1-line block ×3, first 2 shown]
	v_fma_f16 v5, v5, -0.5, v37
	v_sub_f16_e32 v10, v68, v83
	v_fma_f16 v35, v10, s1, v5
	v_fma_f16 v29, v10, s0, v5
	v_add_f16_e32 v5, v14, v84
	v_add_f16_e32 v24, v5, v77
	;; [unrolled: 1-line block ×3, first 2 shown]
	v_lshrrev_b32_e32 v4, 16, v14
	v_fma_f16 v5, v5, -0.5, v14
	v_sub_f16_e32 v10, v69, v22
	v_fma_f16 v25, v10, s0, v5
	v_fma_f16 v26, v10, s1, v5
	v_add_f16_e32 v5, v4, v69
	v_add_f16_e32 v30, v5, v22
	;; [unrolled: 1-line block ×3, first 2 shown]
	v_fma_f16 v4, v5, -0.5, v4
	v_sub_f16_e32 v5, v84, v77
	v_fma_f16 v31, v5, s1, v4
	v_fma_f16 v32, v5, s0, v4
	v_add_f16_e32 v4, v11, v70
	v_lshrrev_b32_e32 v81, 16, v12
	v_add_f16_e32 v27, v4, v78
	v_add_f16_e32 v4, v70, v78
	;; [unrolled: 1-line block ×3, first 2 shown]
	v_lshrrev_b32_e32 v36, 16, v11
	v_fma_f16 v4, v4, -0.5, v11
	v_sub_f16_e32 v5, v71, v63
	v_fma_f16 v15, v14, -0.5, v81
	v_sub_f16_e32 v16, v72, v79
	v_add_f16_e32 v17, v64, v74
	v_lshrrev_b32_e32 v66, 16, v9
	v_fma_f16 v21, v5, s0, v4
	v_fma_f16 v4, v5, s1, v4
	v_add_f16_e32 v5, v36, v71
	v_fma_f16 v14, v16, s1, v15
	v_fma_f16 v15, v16, s0, v15
	v_add_f16_e32 v16, v9, v64
	v_fma_f16 v9, v17, -0.5, v9
	v_sub_f16_e32 v18, v19, v75
	v_add_f16_e32 v34, v5, v63
	v_add_f16_e32 v5, v71, v63
	v_fma_f16 v17, v18, s0, v9
	v_fma_f16 v9, v18, s1, v9
	v_add_f16_e32 v18, v66, v19
	v_add_f16_e32 v19, v19, v75
	v_fma_f16 v5, v5, -0.5, v36
	v_fma_f16 v19, v19, -0.5, v66
	v_sub_f16_e32 v36, v64, v74
	v_fma_f16 v20, v36, s1, v19
	v_fma_f16 v19, v36, s0, v19
	v_pack_b32_f16 v36, v76, v86
	v_pack_b32_f16 v61, v89, v91
	s_waitcnt lgkmcnt(0)
	; wave barrier
	v_pack_b32_f16 v37, v80, v87
	ds_write2_b32 v33, v36, v61 offset1:5
	v_pack_b32_f16 v36, v90, v92
	v_pack_b32_f16 v60, v85, v88
	ds_write2_b32 v33, v37, v36 offset0:50 offset1:55
	v_pack_b32_f16 v36, v58, v59
	v_sub_f16_e32 v10, v70, v78
	v_add_f16_e32 v11, v72, v79
	ds_write2_b32 v33, v60, v36 offset0:100 offset1:105
	v_pack_b32_f16 v36, v50, v54
	v_pack_b32_f16 v37, v51, v55
	;; [unrolled: 1-line block ×3, first 2 shown]
	v_fma_f16 v22, v10, s1, v5
	v_fma_f16 v5, v10, s0, v5
	v_add_f16_e32 v10, v12, v72
	v_fma_f16 v12, v11, -0.5, v12
	v_sub_f16_e32 v13, v73, v62
	ds_write2_b32 v33, v36, v51 offset0:10 offset1:15
	v_pack_b32_f16 v36, v43, v49
	v_fma_f16 v11, v13, s0, v12
	v_fma_f16 v12, v13, s1, v12
	v_add_f16_e32 v13, v81, v73
	ds_write2_b32 v33, v37, v36 offset0:60 offset1:65
	v_pack_b32_f16 v36, v38, v44
	v_pack_b32_f16 v38, v42, v47
	;; [unrolled: 1-line block ×3, first 2 shown]
	v_add_f16_e32 v10, v10, v79
	v_add_f16_e32 v13, v13, v62
	;; [unrolled: 1-line block ×4, first 2 shown]
	ds_write2_b32 v33, v38, v23 offset0:120 offset1:125
	v_pack_b32_f16 v23, v24, v30
	v_pack_b32_f16 v24, v25, v31
	;; [unrolled: 1-line block ×4, first 2 shown]
	ds_write2_b32 v33, v25, v4 offset0:130 offset1:135
	v_pack_b32_f16 v4, v10, v13
	v_pack_b32_f16 v5, v11, v14
	;; [unrolled: 1-line block ×4, first 2 shown]
	ds_write2_b32 v33, v4, v11 offset0:40 offset1:45
	v_pack_b32_f16 v4, v17, v20
	ds_write2_b32 v33, v50, v36 offset0:110 offset1:115
	v_pack_b32_f16 v36, v40, v45
	v_pack_b32_f16 v37, v41, v46
	;; [unrolled: 1-line block ×7, first 2 shown]
	ds_write2_b32 v33, v5, v4 offset0:90 offset1:95
	v_pack_b32_f16 v4, v9, v19
	ds_write2_b32 v33, v36, v39 offset0:20 offset1:25
	ds_write2_b32 v33, v37, v28 offset0:70 offset1:75
	;; [unrolled: 1-line block ×5, first 2 shown]
	s_waitcnt lgkmcnt(0)
	; wave barrier
	s_waitcnt lgkmcnt(0)
	s_and_saveexec_b64 s[0:1], vcc
	s_cbranch_execz .LBB0_20
; %bb.19:
	v_mul_lo_u32 v4, s3, v7
	v_mul_lo_u32 v5, s2, v8
	v_mad_u64_u32 v[7:8], s[0:1], s2, v7, 0
	v_lshl_add_u32 v11, v3, 2, v0
	v_mov_b32_e32 v0, s11
	v_add3_u32 v8, v8, v5, v4
	v_lshlrev_b64 v[7:8], 2, v[7:8]
	v_mov_b32_e32 v4, v6
	v_add_co_u32_e32 v5, vcc, s10, v7
	v_addc_co_u32_e32 v7, vcc, v0, v8, vcc
	v_lshlrev_b64 v[0:1], 2, v[1:2]
	ds_read2_b32 v[9:10], v11 offset0:10 offset1:15
	v_add_co_u32_e32 v12, vcc, v5, v0
	v_addc_co_u32_e32 v13, vcc, v7, v1, vcc
	ds_read2_b32 v[7:8], v11 offset1:5
	v_lshlrev_b64 v[0:1], 2, v[3:4]
	v_add_u32_e32 v5, 5, v3
	v_add_co_u32_e32 v0, vcc, v12, v0
	v_addc_co_u32_e32 v1, vcc, v13, v1, vcc
	s_waitcnt lgkmcnt(0)
	global_store_dword v[0:1], v7, off
	v_lshlrev_b64 v[0:1], 2, v[5:6]
	v_add_u32_e32 v5, 10, v3
	v_add_co_u32_e32 v0, vcc, v12, v0
	v_addc_co_u32_e32 v1, vcc, v13, v1, vcc
	global_store_dword v[0:1], v8, off
	v_lshlrev_b64 v[0:1], 2, v[5:6]
	v_add_u32_e32 v5, 15, v3
	v_add_co_u32_e32 v0, vcc, v12, v0
	v_addc_co_u32_e32 v1, vcc, v13, v1, vcc
	;; [unrolled: 5-line block ×3, first 2 shown]
	global_store_dword v[0:1], v10, off
	ds_read2_b32 v[0:1], v11 offset0:20 offset1:25
	v_lshlrev_b64 v[4:5], 2, v[5:6]
	v_add_co_u32_e32 v4, vcc, v12, v4
	v_addc_co_u32_e32 v5, vcc, v13, v5, vcc
	s_waitcnt lgkmcnt(0)
	global_store_dword v[4:5], v0, off
	v_add_u32_e32 v5, 25, v3
	v_lshlrev_b64 v[4:5], 2, v[5:6]
	v_add_co_u32_e32 v4, vcc, v12, v4
	v_addc_co_u32_e32 v5, vcc, v13, v5, vcc
	global_store_dword v[4:5], v1, off
	v_add_u32_e32 v5, 30, v3
	ds_read2_b32 v[0:1], v11 offset0:30 offset1:35
	v_lshlrev_b64 v[4:5], 2, v[5:6]
	v_add_co_u32_e32 v4, vcc, v12, v4
	v_addc_co_u32_e32 v5, vcc, v13, v5, vcc
	s_waitcnt lgkmcnt(0)
	global_store_dword v[4:5], v0, off
	v_add_u32_e32 v5, 35, v3
	v_lshlrev_b64 v[4:5], 2, v[5:6]
	v_add_co_u32_e32 v4, vcc, v12, v4
	v_addc_co_u32_e32 v5, vcc, v13, v5, vcc
	global_store_dword v[4:5], v1, off
	v_add_u32_e32 v5, 40, v3
	ds_read2_b32 v[0:1], v11 offset0:40 offset1:45
	v_lshlrev_b64 v[4:5], 2, v[5:6]
	v_add_co_u32_e32 v4, vcc, v12, v4
	v_addc_co_u32_e32 v5, vcc, v13, v5, vcc
	s_waitcnt lgkmcnt(0)
	global_store_dword v[4:5], v0, off
	v_add_u32_e32 v5, 45, v3
	v_lshlrev_b64 v[4:5], 2, v[5:6]
	ds_read2_b32 v[7:8], v11 offset0:50 offset1:55
	ds_read2_b32 v[9:10], v11 offset0:60 offset1:65
	v_add_co_u32_e32 v4, vcc, v12, v4
	v_addc_co_u32_e32 v5, vcc, v13, v5, vcc
	global_store_dword v[4:5], v1, off
	v_add_u32_e32 v5, 50, v3
	v_lshlrev_b64 v[0:1], 2, v[5:6]
	v_add_u32_e32 v5, 55, v3
	v_add_co_u32_e32 v0, vcc, v12, v0
	v_addc_co_u32_e32 v1, vcc, v13, v1, vcc
	s_waitcnt lgkmcnt(1)
	global_store_dword v[0:1], v7, off
	v_lshlrev_b64 v[0:1], 2, v[5:6]
	v_add_u32_e32 v5, 60, v3
	v_add_co_u32_e32 v0, vcc, v12, v0
	v_addc_co_u32_e32 v1, vcc, v13, v1, vcc
	global_store_dword v[0:1], v8, off
	v_lshlrev_b64 v[0:1], 2, v[5:6]
	v_add_u32_e32 v5, 0x41, v3
	v_add_co_u32_e32 v0, vcc, v12, v0
	v_addc_co_u32_e32 v1, vcc, v13, v1, vcc
	s_waitcnt lgkmcnt(0)
	global_store_dword v[0:1], v9, off
	v_lshlrev_b64 v[0:1], 2, v[5:6]
	v_add_u32_e32 v5, 0x46, v3
	v_add_co_u32_e32 v0, vcc, v12, v0
	v_addc_co_u32_e32 v1, vcc, v13, v1, vcc
	global_store_dword v[0:1], v10, off
	ds_read2_b32 v[0:1], v11 offset0:70 offset1:75
	v_lshlrev_b64 v[4:5], 2, v[5:6]
	v_add_co_u32_e32 v4, vcc, v12, v4
	v_addc_co_u32_e32 v5, vcc, v13, v5, vcc
	s_waitcnt lgkmcnt(0)
	global_store_dword v[4:5], v0, off
	v_add_u32_e32 v5, 0x4b, v3
	v_lshlrev_b64 v[4:5], 2, v[5:6]
	v_add_co_u32_e32 v4, vcc, v12, v4
	v_addc_co_u32_e32 v5, vcc, v13, v5, vcc
	global_store_dword v[4:5], v1, off
	v_add_u32_e32 v5, 0x50, v3
	ds_read2_b32 v[0:1], v11 offset0:80 offset1:85
	v_lshlrev_b64 v[4:5], 2, v[5:6]
	v_add_co_u32_e32 v4, vcc, v12, v4
	v_addc_co_u32_e32 v5, vcc, v13, v5, vcc
	s_waitcnt lgkmcnt(0)
	global_store_dword v[4:5], v0, off
	v_add_u32_e32 v5, 0x55, v3
	v_lshlrev_b64 v[4:5], 2, v[5:6]
	v_add_co_u32_e32 v4, vcc, v12, v4
	v_addc_co_u32_e32 v5, vcc, v13, v5, vcc
	global_store_dword v[4:5], v1, off
	v_add_u32_e32 v5, 0x5a, v3
	;; [unrolled: 12-line block ×7, first 2 shown]
	ds_read2_b32 v[0:1], v11 offset0:140 offset1:145
	v_lshlrev_b64 v[4:5], 2, v[5:6]
	v_add_co_u32_e32 v4, vcc, v12, v4
	v_addc_co_u32_e32 v5, vcc, v13, v5, vcc
	s_waitcnt lgkmcnt(0)
	global_store_dword v[4:5], v0, off
	v_add_u32_e32 v5, 0x91, v3
	v_lshlrev_b64 v[2:3], 2, v[5:6]
	v_add_co_u32_e32 v2, vcc, v12, v2
	v_addc_co_u32_e32 v3, vcc, v13, v3, vcc
	global_store_dword v[2:3], v1, off
.LBB0_20:
	s_endpgm
	.section	.rodata,"a",@progbits
	.p2align	6, 0x0
	.amdhsa_kernel fft_rtc_fwd_len150_factors_10_5_3_wgs_60_tpt_5_halfLds_half_op_CI_CI_unitstride_sbrr_C2R_dirReg
		.amdhsa_group_segment_fixed_size 0
		.amdhsa_private_segment_fixed_size 0
		.amdhsa_kernarg_size 104
		.amdhsa_user_sgpr_count 6
		.amdhsa_user_sgpr_private_segment_buffer 1
		.amdhsa_user_sgpr_dispatch_ptr 0
		.amdhsa_user_sgpr_queue_ptr 0
		.amdhsa_user_sgpr_kernarg_segment_ptr 1
		.amdhsa_user_sgpr_dispatch_id 0
		.amdhsa_user_sgpr_flat_scratch_init 0
		.amdhsa_user_sgpr_private_segment_size 0
		.amdhsa_uses_dynamic_stack 0
		.amdhsa_system_sgpr_private_segment_wavefront_offset 0
		.amdhsa_system_sgpr_workgroup_id_x 1
		.amdhsa_system_sgpr_workgroup_id_y 0
		.amdhsa_system_sgpr_workgroup_id_z 0
		.amdhsa_system_sgpr_workgroup_info 0
		.amdhsa_system_vgpr_workitem_id 0
		.amdhsa_next_free_vgpr 93
		.amdhsa_next_free_sgpr 28
		.amdhsa_reserve_vcc 1
		.amdhsa_reserve_flat_scratch 0
		.amdhsa_float_round_mode_32 0
		.amdhsa_float_round_mode_16_64 0
		.amdhsa_float_denorm_mode_32 3
		.amdhsa_float_denorm_mode_16_64 3
		.amdhsa_dx10_clamp 1
		.amdhsa_ieee_mode 1
		.amdhsa_fp16_overflow 0
		.amdhsa_exception_fp_ieee_invalid_op 0
		.amdhsa_exception_fp_denorm_src 0
		.amdhsa_exception_fp_ieee_div_zero 0
		.amdhsa_exception_fp_ieee_overflow 0
		.amdhsa_exception_fp_ieee_underflow 0
		.amdhsa_exception_fp_ieee_inexact 0
		.amdhsa_exception_int_div_zero 0
	.end_amdhsa_kernel
	.text
.Lfunc_end0:
	.size	fft_rtc_fwd_len150_factors_10_5_3_wgs_60_tpt_5_halfLds_half_op_CI_CI_unitstride_sbrr_C2R_dirReg, .Lfunc_end0-fft_rtc_fwd_len150_factors_10_5_3_wgs_60_tpt_5_halfLds_half_op_CI_CI_unitstride_sbrr_C2R_dirReg
                                        ; -- End function
	.section	.AMDGPU.csdata,"",@progbits
; Kernel info:
; codeLenInByte = 15208
; NumSgprs: 32
; NumVgprs: 93
; ScratchSize: 0
; MemoryBound: 0
; FloatMode: 240
; IeeeMode: 1
; LDSByteSize: 0 bytes/workgroup (compile time only)
; SGPRBlocks: 3
; VGPRBlocks: 23
; NumSGPRsForWavesPerEU: 32
; NumVGPRsForWavesPerEU: 93
; Occupancy: 2
; WaveLimiterHint : 1
; COMPUTE_PGM_RSRC2:SCRATCH_EN: 0
; COMPUTE_PGM_RSRC2:USER_SGPR: 6
; COMPUTE_PGM_RSRC2:TRAP_HANDLER: 0
; COMPUTE_PGM_RSRC2:TGID_X_EN: 1
; COMPUTE_PGM_RSRC2:TGID_Y_EN: 0
; COMPUTE_PGM_RSRC2:TGID_Z_EN: 0
; COMPUTE_PGM_RSRC2:TIDIG_COMP_CNT: 0
	.type	__hip_cuid_7bc64f95ad394b66,@object ; @__hip_cuid_7bc64f95ad394b66
	.section	.bss,"aw",@nobits
	.globl	__hip_cuid_7bc64f95ad394b66
__hip_cuid_7bc64f95ad394b66:
	.byte	0                               ; 0x0
	.size	__hip_cuid_7bc64f95ad394b66, 1

	.ident	"AMD clang version 19.0.0git (https://github.com/RadeonOpenCompute/llvm-project roc-6.4.0 25133 c7fe45cf4b819c5991fe208aaa96edf142730f1d)"
	.section	".note.GNU-stack","",@progbits
	.addrsig
	.addrsig_sym __hip_cuid_7bc64f95ad394b66
	.amdgpu_metadata
---
amdhsa.kernels:
  - .args:
      - .actual_access:  read_only
        .address_space:  global
        .offset:         0
        .size:           8
        .value_kind:     global_buffer
      - .offset:         8
        .size:           8
        .value_kind:     by_value
      - .actual_access:  read_only
        .address_space:  global
        .offset:         16
        .size:           8
        .value_kind:     global_buffer
      - .actual_access:  read_only
        .address_space:  global
        .offset:         24
        .size:           8
        .value_kind:     global_buffer
      - .actual_access:  read_only
        .address_space:  global
        .offset:         32
        .size:           8
        .value_kind:     global_buffer
      - .offset:         40
        .size:           8
        .value_kind:     by_value
      - .actual_access:  read_only
        .address_space:  global
        .offset:         48
        .size:           8
        .value_kind:     global_buffer
      - .actual_access:  read_only
        .address_space:  global
        .offset:         56
        .size:           8
        .value_kind:     global_buffer
      - .offset:         64
        .size:           4
        .value_kind:     by_value
      - .actual_access:  read_only
        .address_space:  global
        .offset:         72
        .size:           8
        .value_kind:     global_buffer
      - .actual_access:  read_only
        .address_space:  global
        .offset:         80
        .size:           8
        .value_kind:     global_buffer
      - .actual_access:  read_only
        .address_space:  global
        .offset:         88
        .size:           8
        .value_kind:     global_buffer
      - .actual_access:  write_only
        .address_space:  global
        .offset:         96
        .size:           8
        .value_kind:     global_buffer
    .group_segment_fixed_size: 0
    .kernarg_segment_align: 8
    .kernarg_segment_size: 104
    .language:       OpenCL C
    .language_version:
      - 2
      - 0
    .max_flat_workgroup_size: 60
    .name:           fft_rtc_fwd_len150_factors_10_5_3_wgs_60_tpt_5_halfLds_half_op_CI_CI_unitstride_sbrr_C2R_dirReg
    .private_segment_fixed_size: 0
    .sgpr_count:     32
    .sgpr_spill_count: 0
    .symbol:         fft_rtc_fwd_len150_factors_10_5_3_wgs_60_tpt_5_halfLds_half_op_CI_CI_unitstride_sbrr_C2R_dirReg.kd
    .uniform_work_group_size: 1
    .uses_dynamic_stack: false
    .vgpr_count:     93
    .vgpr_spill_count: 0
    .wavefront_size: 64
amdhsa.target:   amdgcn-amd-amdhsa--gfx906
amdhsa.version:
  - 1
  - 2
...

	.end_amdgpu_metadata
